;; amdgpu-corpus repo=ROCm/rocFFT kind=compiled arch=gfx1201 opt=O3
	.text
	.amdgcn_target "amdgcn-amd-amdhsa--gfx1201"
	.amdhsa_code_object_version 6
	.protected	bluestein_single_back_len3375_dim1_dp_op_CI_CI ; -- Begin function bluestein_single_back_len3375_dim1_dp_op_CI_CI
	.globl	bluestein_single_back_len3375_dim1_dp_op_CI_CI
	.p2align	8
	.type	bluestein_single_back_len3375_dim1_dp_op_CI_CI,@function
bluestein_single_back_len3375_dim1_dp_op_CI_CI: ; @bluestein_single_back_len3375_dim1_dp_op_CI_CI
; %bb.0:
	s_load_b128 s[12:15], s[0:1], 0x28
	v_mul_u32_u24_e32 v1, 0x124, v0
	s_mov_b32 s2, exec_lo
	v_mov_b32_e32 v2, 0
	s_delay_alu instid0(VALU_DEP_2) | instskip(NEXT) | instid1(VALU_DEP_1)
	v_lshrrev_b32_e32 v3, 16, v1
	v_add_nc_u32_e32 v1, ttmp9, v3
	s_wait_kmcnt 0x0
	s_delay_alu instid0(VALU_DEP_1)
	v_cmpx_gt_u64_e64 s[12:13], v[1:2]
	s_cbranch_execz .LBB0_2
; %bb.1:
	s_clause 0x2
	s_load_b128 s[4:7], s[0:1], 0x0
	s_load_b128 s[8:11], s[0:1], 0x18
	s_load_b64 s[12:13], s[0:1], 0x38
	s_mov_b32 s17, 0xbfee6f0e
	s_mov_b32 s23, 0xbfebb67a
	s_wait_kmcnt 0x0
	s_add_nc_u64 s[18:19], s[4:5], 0xd2f0
	s_load_b128 s[0:3], s[10:11], 0x0
	s_load_b128 s[8:11], s[8:9], 0x0
	s_wait_kmcnt 0x0
	v_mad_co_u64_u32 v[6:7], null, s2, v1, 0
	s_delay_alu instid0(VALU_DEP_1) | instskip(NEXT) | instid1(VALU_DEP_1)
	v_mov_b32_e32 v2, v7
	v_mad_co_u64_u32 v[4:5], null, s3, v1, v[2:3]
	s_mul_u64 s[2:3], s[8:9], 0x2a30
	s_delay_alu instid0(VALU_DEP_1) | instskip(SKIP_1) | instid1(VALU_DEP_1)
	v_mov_b32_e32 v7, v4
	v_mad_co_u64_u32 v[4:5], null, s10, v1, 0
	v_mov_b32_e32 v2, v5
	s_delay_alu instid0(VALU_DEP_1) | instskip(NEXT) | instid1(VALU_DEP_1)
	v_mad_co_u64_u32 v[1:2], null, s11, v1, v[2:3]
	v_mov_b32_e32 v5, v1
	v_mul_lo_u16 v1, 0xe1, v3
	s_delay_alu instid0(VALU_DEP_1) | instskip(NEXT) | instid1(VALU_DEP_1)
	v_sub_nc_u16 v77, v0, v1
	v_and_b32_e32 v3, 0xffff, v77
	s_delay_alu instid0(VALU_DEP_1) | instskip(NEXT) | instid1(VALU_DEP_1)
	v_mad_co_u64_u32 v[0:1], null, s8, v3, 0
	v_mad_co_u64_u32 v[1:2], null, s9, v3, v[1:2]
	s_mul_i32 s9, s9, 0xffff6550
	s_wait_alu 0xfffe
	s_sub_co_i32 s9, s9, s8
	v_mov_b32_e32 v116, v3
	v_lshlrev_b64_e32 v[2:3], 4, v[4:5]
	s_delay_alu instid0(VALU_DEP_3) | instskip(NEXT) | instid1(VALU_DEP_3)
	v_lshlrev_b64_e32 v[0:1], 4, v[0:1]
	v_lshlrev_b32_e32 v40, 4, v116
	s_delay_alu instid0(VALU_DEP_3) | instskip(NEXT) | instid1(VALU_DEP_4)
	v_add_co_u32 v2, vcc_lo, s14, v2
	v_add_co_ci_u32_e32 v3, vcc_lo, s15, v3, vcc_lo
	global_load_b128 v[10:13], v40, s[4:5]
	v_add_co_u32 v8, vcc_lo, v2, v0
	s_wait_alu 0xfffd
	v_add_co_ci_u32_e32 v9, vcc_lo, v3, v1, vcc_lo
	scratch_store_b64 off, v[6:7], off offset:224 ; 8-byte Folded Spill
	s_mov_b32 s15, 0xbfe2cf23
	global_load_b128 v[0:3], v[8:9], off
	v_add_co_u32 v8, vcc_lo, v8, s2
	s_wait_alu 0xfffd
	v_add_co_ci_u32_e32 v9, vcc_lo, s3, v9, vcc_lo
	s_wait_loadcnt 0x1
	scratch_store_b128 off, v[10:13], off offset:232 ; 16-byte Folded Spill
	s_wait_loadcnt 0x0
	v_mul_f64_e32 v[4:5], v[2:3], v[12:13]
	s_delay_alu instid0(VALU_DEP_1) | instskip(SKIP_1) | instid1(VALU_DEP_1)
	v_fma_f64 v[4:5], v[0:1], v[10:11], v[4:5]
	v_mul_f64_e32 v[0:1], v[0:1], v[12:13]
	v_fma_f64 v[6:7], v[2:3], v[10:11], -v[0:1]
	ds_store_b128 v40, v[4:7]
	global_load_b128 v[0:3], v[8:9], off
	global_load_b128 v[10:13], v40, s[4:5] offset:10800
	v_add_co_u32 v8, vcc_lo, v8, s2
	s_wait_alu 0xfffd
	v_add_co_ci_u32_e32 v9, vcc_lo, s3, v9, vcc_lo
	s_wait_loadcnt 0x0
	v_mul_f64_e32 v[4:5], v[2:3], v[12:13]
	scratch_store_b128 off, v[10:13], off offset:176 ; 16-byte Folded Spill
	v_fma_f64 v[4:5], v[0:1], v[10:11], v[4:5]
	v_mul_f64_e32 v[0:1], v[0:1], v[12:13]
	s_delay_alu instid0(VALU_DEP_1)
	v_fma_f64 v[6:7], v[2:3], v[10:11], -v[0:1]
	ds_store_b128 v40, v[4:7] offset:10800
	global_load_b128 v[0:3], v[8:9], off
	global_load_b128 v[10:13], v40, s[4:5] offset:21600
	v_add_co_u32 v8, vcc_lo, v8, s2
	s_wait_alu 0xfffd
	v_add_co_ci_u32_e32 v9, vcc_lo, s3, v9, vcc_lo
	s_wait_loadcnt 0x0
	v_mul_f64_e32 v[4:5], v[2:3], v[12:13]
	scratch_store_b128 off, v[10:13], off offset:16 ; 16-byte Folded Spill
	v_fma_f64 v[4:5], v[0:1], v[10:11], v[4:5]
	v_mul_f64_e32 v[0:1], v[0:1], v[12:13]
	s_delay_alu instid0(VALU_DEP_1)
	v_fma_f64 v[6:7], v[2:3], v[10:11], -v[0:1]
	ds_store_b128 v40, v[4:7] offset:21600
	;; [unrolled: 13-line block ×3, first 2 shown]
	global_load_b128 v[0:3], v[8:9], off
	global_load_b128 v[10:13], v40, s[4:5] offset:43200
	v_mad_co_u64_u32 v[8:9], null, 0xffff6550, s8, v[8:9]
	s_wait_alu 0xfffe
	s_delay_alu instid0(VALU_DEP_1)
	v_add_nc_u32_e32 v9, s9, v9
	v_add_co_u32 v76, s10, 0xe1, v116
	s_wait_alu 0xf1ff
	v_add_co_ci_u32_e64 v79, null, 0, 0, s10
	s_mov_b32 s10, 0x4755a5e
	s_mov_b32 s11, 0x3fe2cf23
	s_wait_alu 0xfffe
	s_mov_b32 s14, s10
	v_add_co_u32 v78, null, 0x1c2, v116
	v_add_co_u32 v74, null, 0x2a3, v116
	;; [unrolled: 1-line block ×3, first 2 shown]
	s_wait_loadcnt 0x0
	v_mul_f64_e32 v[4:5], v[2:3], v[12:13]
	scratch_store_b128 off, v[10:13], off offset:64 ; 16-byte Folded Spill
	v_fma_f64 v[4:5], v[0:1], v[10:11], v[4:5]
	v_mul_f64_e32 v[0:1], v[0:1], v[12:13]
	s_delay_alu instid0(VALU_DEP_1)
	v_fma_f64 v[6:7], v[2:3], v[10:11], -v[0:1]
	ds_store_b128 v40, v[4:7] offset:43200
	global_load_b128 v[0:3], v[8:9], off
	global_load_b128 v[10:13], v40, s[4:5] offset:3600
	v_add_co_u32 v8, vcc_lo, v8, s2
	s_wait_alu 0xfffd
	v_add_co_ci_u32_e32 v9, vcc_lo, s3, v9, vcc_lo
	s_wait_loadcnt 0x0
	v_mul_f64_e32 v[4:5], v[2:3], v[12:13]
	scratch_store_b128 off, v[10:13], off offset:112 ; 16-byte Folded Spill
	v_fma_f64 v[4:5], v[0:1], v[10:11], v[4:5]
	v_mul_f64_e32 v[0:1], v[0:1], v[12:13]
	s_delay_alu instid0(VALU_DEP_1)
	v_fma_f64 v[6:7], v[2:3], v[10:11], -v[0:1]
	ds_store_b128 v40, v[4:7] offset:3600
	global_load_b128 v[0:3], v[8:9], off
	global_load_b128 v[10:13], v40, s[4:5] offset:14400
	v_add_co_u32 v8, vcc_lo, v8, s2
	s_wait_alu 0xfffd
	v_add_co_ci_u32_e32 v9, vcc_lo, s3, v9, vcc_lo
	s_wait_loadcnt 0x0
	v_mul_f64_e32 v[4:5], v[2:3], v[12:13]
	scratch_store_b128 off, v[10:13], off   ; 16-byte Folded Spill
	v_fma_f64 v[4:5], v[0:1], v[10:11], v[4:5]
	v_mul_f64_e32 v[0:1], v[0:1], v[12:13]
	s_delay_alu instid0(VALU_DEP_1)
	v_fma_f64 v[6:7], v[2:3], v[10:11], -v[0:1]
	ds_store_b128 v40, v[4:7] offset:14400
	global_load_b128 v[0:3], v[8:9], off
	global_load_b128 v[10:13], v40, s[4:5] offset:25200
	v_add_co_u32 v8, vcc_lo, v8, s2
	s_wait_alu 0xfffd
	v_add_co_ci_u32_e32 v9, vcc_lo, s3, v9, vcc_lo
	s_wait_loadcnt 0x0
	v_mul_f64_e32 v[4:5], v[2:3], v[12:13]
	scratch_store_b128 off, v[10:13], off offset:48 ; 16-byte Folded Spill
	v_fma_f64 v[4:5], v[0:1], v[10:11], v[4:5]
	v_mul_f64_e32 v[0:1], v[0:1], v[12:13]
	s_delay_alu instid0(VALU_DEP_1)
	v_fma_f64 v[6:7], v[2:3], v[10:11], -v[0:1]
	ds_store_b128 v40, v[4:7] offset:25200
	global_load_b128 v[0:3], v[8:9], off
	global_load_b128 v[10:13], v40, s[4:5] offset:36000
	v_add_co_u32 v8, vcc_lo, v8, s2
	s_wait_alu 0xfffd
	v_add_co_ci_u32_e32 v9, vcc_lo, s3, v9, vcc_lo
	s_wait_loadcnt 0x0
	v_mul_f64_e32 v[4:5], v[2:3], v[12:13]
	scratch_store_b128 off, v[10:13], off offset:80 ; 16-byte Folded Spill
	v_fma_f64 v[4:5], v[0:1], v[10:11], v[4:5]
	v_mul_f64_e32 v[0:1], v[0:1], v[12:13]
	s_delay_alu instid0(VALU_DEP_1) | instskip(SKIP_4) | instid1(VALU_DEP_1)
	v_fma_f64 v[6:7], v[2:3], v[10:11], -v[0:1]
	ds_store_b128 v40, v[4:7] offset:36000
	global_load_b128 v[0:3], v[8:9], off
	global_load_b128 v[10:13], v40, s[4:5] offset:46800
	v_mad_co_u64_u32 v[8:9], null, 0xffff6550, s8, v[8:9]
	v_add_nc_u32_e32 v9, s9, v9
	s_mov_b32 s8, 0x372fe950
	s_mov_b32 s9, 0x3fd3c6ef
	s_wait_loadcnt 0x0
	v_mul_f64_e32 v[4:5], v[2:3], v[12:13]
	scratch_store_b128 off, v[10:13], off offset:96 ; 16-byte Folded Spill
	v_fma_f64 v[4:5], v[0:1], v[10:11], v[4:5]
	v_mul_f64_e32 v[0:1], v[0:1], v[12:13]
	s_delay_alu instid0(VALU_DEP_1)
	v_fma_f64 v[6:7], v[2:3], v[10:11], -v[0:1]
	ds_store_b128 v40, v[4:7] offset:46800
	global_load_b128 v[0:3], v[8:9], off
	global_load_b128 v[10:13], v40, s[4:5] offset:7200
	v_add_co_u32 v8, vcc_lo, v8, s2
	s_wait_alu 0xfffd
	v_add_co_ci_u32_e32 v9, vcc_lo, s3, v9, vcc_lo
	s_wait_loadcnt 0x0
	v_mul_f64_e32 v[4:5], v[2:3], v[12:13]
	scratch_store_b128 off, v[10:13], off offset:128 ; 16-byte Folded Spill
	v_fma_f64 v[4:5], v[0:1], v[10:11], v[4:5]
	v_mul_f64_e32 v[0:1], v[0:1], v[12:13]
	s_delay_alu instid0(VALU_DEP_1)
	v_fma_f64 v[6:7], v[2:3], v[10:11], -v[0:1]
	ds_store_b128 v40, v[4:7] offset:7200
	global_load_b128 v[0:3], v[8:9], off
	global_load_b128 v[10:13], v40, s[4:5] offset:18000
	v_add_co_u32 v8, vcc_lo, v8, s2
	s_wait_alu 0xfffd
	v_add_co_ci_u32_e32 v9, vcc_lo, s3, v9, vcc_lo
	s_wait_loadcnt 0x0
	v_mul_f64_e32 v[4:5], v[2:3], v[12:13]
	scratch_store_b128 off, v[10:13], off offset:144 ; 16-byte Folded Spill
	v_fma_f64 v[4:5], v[0:1], v[10:11], v[4:5]
	v_mul_f64_e32 v[0:1], v[0:1], v[12:13]
	s_delay_alu instid0(VALU_DEP_1)
	v_fma_f64 v[6:7], v[2:3], v[10:11], -v[0:1]
	ds_store_b128 v40, v[4:7] offset:18000
	global_load_b128 v[0:3], v[8:9], off
	global_load_b128 v[10:13], v40, s[4:5] offset:28800
	v_add_co_u32 v8, vcc_lo, v8, s2
	s_wait_alu 0xfffd
	v_add_co_ci_u32_e32 v9, vcc_lo, s3, v9, vcc_lo
	s_wait_loadcnt 0x0
	v_mul_f64_e32 v[4:5], v[2:3], v[12:13]
	scratch_store_b128 off, v[10:13], off offset:160 ; 16-byte Folded Spill
	v_fma_f64 v[4:5], v[0:1], v[10:11], v[4:5]
	v_mul_f64_e32 v[0:1], v[0:1], v[12:13]
	s_delay_alu instid0(VALU_DEP_1)
	v_fma_f64 v[6:7], v[2:3], v[10:11], -v[0:1]
	ds_store_b128 v40, v[4:7] offset:28800
	global_load_b128 v[0:3], v[8:9], off
	global_load_b128 v[10:13], v40, s[4:5] offset:39600
	s_wait_loadcnt 0x0
	v_mul_f64_e32 v[4:5], v[2:3], v[12:13]
	scratch_store_b128 off, v[10:13], off offset:192 ; 16-byte Folded Spill
	v_fma_f64 v[4:5], v[0:1], v[10:11], v[4:5]
	v_mul_f64_e32 v[0:1], v[0:1], v[12:13]
	s_delay_alu instid0(VALU_DEP_1)
	v_fma_f64 v[6:7], v[2:3], v[10:11], -v[0:1]
	v_add_co_u32 v0, vcc_lo, v8, s2
	s_wait_alu 0xfffd
	v_add_co_ci_u32_e32 v1, vcc_lo, s3, v9, vcc_lo
	s_mov_b32 s2, 0x134454ff
	s_mov_b32 s3, 0x3fee6f0e
	s_wait_alu 0xfffe
	s_mov_b32 s16, s2
	v_cmp_gt_u16_e32 vcc_lo, 0x7d, v77
	ds_store_b128 v40, v[4:7] offset:39600
	global_load_b128 v[0:3], v[0:1], off
	global_load_b128 v[4:7], v40, s[4:5] offset:50400
	s_wait_loadcnt 0x0
	v_mov_b32_e32 v9, v7
	v_dual_mov_b32 v8, v6 :: v_dual_mov_b32 v7, v5
	v_mov_b32_e32 v6, v4
	s_delay_alu instid0(VALU_DEP_2) | instskip(SKIP_3) | instid1(VALU_DEP_1)
	v_mul_f64_e32 v[4:5], v[2:3], v[8:9]
	scratch_store_b128 off, v[6:9], off offset:208 ; 16-byte Folded Spill
	v_fma_f64 v[4:5], v[0:1], v[6:7], v[4:5]
	v_mul_f64_e32 v[0:1], v[0:1], v[8:9]
	v_fma_f64 v[6:7], v[2:3], v[6:7], -v[0:1]
	ds_store_b128 v40, v[4:7] offset:50400
	global_wb scope:SCOPE_SE
	s_wait_storecnt_dscnt 0x0
	s_barrier_signal -1
	s_barrier_wait -1
	global_inv scope:SCOPE_SE
	ds_load_b128 v[12:15], v40
	ds_load_b128 v[41:44], v40 offset:10800
	ds_load_b128 v[45:48], v40 offset:21600
	;; [unrolled: 1-line block ×14, first 2 shown]
	global_wb scope:SCOPE_SE
	s_wait_dscnt 0x0
	s_barrier_signal -1
	s_barrier_wait -1
	global_inv scope:SCOPE_SE
	v_add_f64_e32 v[0:1], v[12:13], v[41:42]
	v_add_f64_e64 v[8:9], v[41:42], -v[45:46]
	v_add_f64_e32 v[2:3], v[45:46], v[49:50]
	v_add_f64_e64 v[6:7], v[43:44], -v[55:56]
	v_add_f64_e64 v[10:11], v[47:48], -v[51:52]
	;; [unrolled: 1-line block ×4, first 2 shown]
	v_add_f64_e32 v[0:1], v[0:1], v[45:46]
	v_fma_f64 v[2:3], v[2:3], -0.5, v[12:13]
	s_delay_alu instid0(VALU_DEP_4) | instskip(SKIP_1) | instid1(VALU_DEP_4)
	v_add_f64_e32 v[8:9], v[8:9], v[16:17]
	v_add_f64_e64 v[16:17], v[45:46], -v[41:42]
	v_add_f64_e32 v[0:1], v[0:1], v[49:50]
	s_delay_alu instid0(VALU_DEP_4) | instskip(SKIP_1) | instid1(VALU_DEP_4)
	v_fma_f64 v[4:5], v[6:7], s[2:3], v[2:3]
	v_fma_f64 v[2:3], v[6:7], s[16:17], v[2:3]
	v_add_f64_e32 v[16:17], v[16:17], v[18:19]
	v_add_f64_e64 v[18:19], v[41:42], -v[53:54]
	v_add_f64_e32 v[0:1], v[0:1], v[53:54]
	v_fma_f64 v[4:5], v[10:11], s[10:11], v[4:5]
	v_fma_f64 v[2:3], v[10:11], s[14:15], v[2:3]
	s_delay_alu instid0(VALU_DEP_2) | instskip(NEXT) | instid1(VALU_DEP_2)
	v_fma_f64 v[4:5], v[8:9], s[8:9], v[4:5]
	v_fma_f64 v[8:9], v[8:9], s[8:9], v[2:3]
	v_add_f64_e32 v[2:3], v[41:42], v[53:54]
	v_add_f64_e64 v[41:42], v[45:46], -v[49:50]
	v_add_f64_e64 v[45:46], v[43:44], -v[47:48]
	;; [unrolled: 1-line block ×4, first 2 shown]
	v_fma_f64 v[2:3], v[2:3], -0.5, v[12:13]
	s_delay_alu instid0(VALU_DEP_3) | instskip(SKIP_1) | instid1(VALU_DEP_3)
	v_add_f64_e32 v[45:46], v[45:46], v[49:50]
	v_add_f64_e64 v[49:50], v[61:62], -v[65:66]
	v_fma_f64 v[12:13], v[10:11], s[16:17], v[2:3]
	v_fma_f64 v[2:3], v[10:11], s[2:3], v[2:3]
	s_delay_alu instid0(VALU_DEP_3) | instskip(NEXT) | instid1(VALU_DEP_3)
	v_add_f64_e32 v[49:50], v[49:50], v[53:54]
	v_fma_f64 v[12:13], v[6:7], s[10:11], v[12:13]
	s_delay_alu instid0(VALU_DEP_3) | instskip(SKIP_1) | instid1(VALU_DEP_3)
	v_fma_f64 v[2:3], v[6:7], s[14:15], v[2:3]
	v_add_f64_e32 v[6:7], v[47:48], v[51:52]
	v_fma_f64 v[12:13], v[16:17], s[8:9], v[12:13]
	s_delay_alu instid0(VALU_DEP_3) | instskip(NEXT) | instid1(VALU_DEP_3)
	v_fma_f64 v[16:17], v[16:17], s[8:9], v[2:3]
	v_fma_f64 v[10:11], v[6:7], -0.5, v[14:15]
	v_add_f64_e32 v[2:3], v[14:15], v[43:44]
	s_delay_alu instid0(VALU_DEP_2) | instskip(SKIP_1) | instid1(VALU_DEP_3)
	v_fma_f64 v[6:7], v[18:19], s[16:17], v[10:11]
	v_fma_f64 v[10:11], v[18:19], s[2:3], v[10:11]
	v_add_f64_e32 v[2:3], v[2:3], v[47:48]
	s_delay_alu instid0(VALU_DEP_3) | instskip(NEXT) | instid1(VALU_DEP_3)
	v_fma_f64 v[6:7], v[41:42], s[14:15], v[6:7]
	v_fma_f64 v[10:11], v[41:42], s[10:11], v[10:11]
	s_delay_alu instid0(VALU_DEP_3) | instskip(NEXT) | instid1(VALU_DEP_3)
	v_add_f64_e32 v[2:3], v[2:3], v[51:52]
	v_fma_f64 v[6:7], v[45:46], s[8:9], v[6:7]
	s_delay_alu instid0(VALU_DEP_3)
	v_fma_f64 v[10:11], v[45:46], s[8:9], v[10:11]
	v_add_f64_e32 v[45:46], v[43:44], v[55:56]
	v_add_f64_e64 v[43:44], v[47:48], -v[43:44]
	v_add_f64_e64 v[47:48], v[51:52], -v[55:56]
	;; [unrolled: 1-line block ×3, first 2 shown]
	v_add_f64_e32 v[2:3], v[2:3], v[55:56]
	v_add_f64_e64 v[55:56], v[65:66], -v[61:62]
	v_fma_f64 v[45:46], v[45:46], -0.5, v[14:15]
	v_add_f64_e32 v[43:44], v[43:44], v[47:48]
	v_add_f64_e64 v[47:48], v[63:64], -v[82:83]
	s_delay_alu instid0(VALU_DEP_3) | instskip(SKIP_1) | instid1(VALU_DEP_2)
	v_fma_f64 v[14:15], v[41:42], s[2:3], v[45:46]
	v_fma_f64 v[41:42], v[41:42], s[16:17], v[45:46]
	;; [unrolled: 1-line block ×3, first 2 shown]
	s_delay_alu instid0(VALU_DEP_2) | instskip(SKIP_1) | instid1(VALU_DEP_3)
	v_fma_f64 v[18:19], v[18:19], s[10:11], v[41:42]
	v_add_f64_e32 v[41:42], v[57:58], v[61:62]
	v_fma_f64 v[14:15], v[43:44], s[8:9], v[14:15]
	s_delay_alu instid0(VALU_DEP_3) | instskip(SKIP_1) | instid1(VALU_DEP_4)
	v_fma_f64 v[18:19], v[43:44], s[8:9], v[18:19]
	v_add_f64_e32 v[43:44], v[65:66], v[69:70]
	v_add_f64_e32 v[41:42], v[41:42], v[65:66]
	v_add_f64_e64 v[65:66], v[65:66], -v[69:70]
	s_delay_alu instid0(VALU_DEP_3) | instskip(NEXT) | instid1(VALU_DEP_3)
	v_fma_f64 v[43:44], v[43:44], -0.5, v[57:58]
	v_add_f64_e32 v[41:42], v[41:42], v[69:70]
	s_delay_alu instid0(VALU_DEP_2) | instskip(SKIP_1) | instid1(VALU_DEP_3)
	v_fma_f64 v[45:46], v[47:48], s[2:3], v[43:44]
	v_fma_f64 v[43:44], v[47:48], s[16:17], v[43:44]
	v_add_f64_e32 v[41:42], v[41:42], v[80:81]
	s_delay_alu instid0(VALU_DEP_3) | instskip(NEXT) | instid1(VALU_DEP_3)
	v_fma_f64 v[45:46], v[51:52], s[10:11], v[45:46]
	v_fma_f64 v[43:44], v[51:52], s[14:15], v[43:44]
	s_delay_alu instid0(VALU_DEP_2) | instskip(NEXT) | instid1(VALU_DEP_2)
	v_fma_f64 v[45:46], v[49:50], s[8:9], v[45:46]
	v_fma_f64 v[49:50], v[49:50], s[8:9], v[43:44]
	v_add_f64_e32 v[43:44], v[61:62], v[80:81]
	v_add_f64_e64 v[61:62], v[61:62], -v[80:81]
	s_delay_alu instid0(VALU_DEP_2) | instskip(SKIP_3) | instid1(VALU_DEP_4)
	v_fma_f64 v[43:44], v[43:44], -0.5, v[57:58]
	v_add_f64_e64 v[57:58], v[69:70], -v[80:81]
	v_add_f64_e64 v[69:70], v[82:83], -v[71:72]
	;; [unrolled: 1-line block ×3, first 2 shown]
	v_fma_f64 v[53:54], v[51:52], s[16:17], v[43:44]
	v_fma_f64 v[43:44], v[51:52], s[2:3], v[43:44]
	v_add_f64_e32 v[55:56], v[55:56], v[57:58]
	s_delay_alu instid0(VALU_DEP_3) | instskip(NEXT) | instid1(VALU_DEP_3)
	v_fma_f64 v[53:54], v[47:48], s[10:11], v[53:54]
	v_fma_f64 v[43:44], v[47:48], s[14:15], v[43:44]
	v_add_f64_e32 v[47:48], v[67:68], v[71:72]
	s_delay_alu instid0(VALU_DEP_3) | instskip(NEXT) | instid1(VALU_DEP_3)
	v_fma_f64 v[53:54], v[55:56], s[8:9], v[53:54]
	v_fma_f64 v[57:58], v[55:56], s[8:9], v[43:44]
	s_delay_alu instid0(VALU_DEP_3) | instskip(SKIP_2) | instid1(VALU_DEP_3)
	v_fma_f64 v[51:52], v[47:48], -0.5, v[59:60]
	v_add_f64_e64 v[55:56], v[63:64], -v[67:68]
	v_add_f64_e32 v[43:44], v[59:60], v[63:64]
	v_fma_f64 v[47:48], v[61:62], s[16:17], v[51:52]
	v_fma_f64 v[51:52], v[61:62], s[2:3], v[51:52]
	s_delay_alu instid0(VALU_DEP_4) | instskip(NEXT) | instid1(VALU_DEP_4)
	v_add_f64_e32 v[55:56], v[55:56], v[69:70]
	v_add_f64_e32 v[43:44], v[43:44], v[67:68]
	v_add_f64_e64 v[69:70], v[28:29], -v[32:33]
	v_fma_f64 v[47:48], v[65:66], s[14:15], v[47:48]
	v_fma_f64 v[51:52], v[65:66], s[10:11], v[51:52]
	s_delay_alu instid0(VALU_DEP_4) | instskip(NEXT) | instid1(VALU_DEP_4)
	v_add_f64_e32 v[43:44], v[43:44], v[71:72]
	v_add_f64_e32 v[69:70], v[69:70], v[80:81]
	v_add_f64_e64 v[80:81], v[32:33], -v[28:29]
	v_fma_f64 v[47:48], v[55:56], s[8:9], v[47:48]
	v_fma_f64 v[51:52], v[55:56], s[8:9], v[51:52]
	v_add_f64_e32 v[55:56], v[63:64], v[82:83]
	v_add_f64_e64 v[63:64], v[67:68], -v[63:64]
	v_add_f64_e64 v[67:68], v[71:72], -v[82:83]
	;; [unrolled: 1-line block ×3, first 2 shown]
	v_add_f64_e32 v[43:44], v[43:44], v[82:83]
	v_add_f64_e64 v[82:83], v[20:21], -v[24:25]
	v_fma_f64 v[59:60], v[55:56], -0.5, v[59:60]
	v_add_f64_e32 v[63:64], v[63:64], v[67:68]
	v_add_f64_e64 v[67:68], v[30:31], -v[26:27]
	s_delay_alu instid0(VALU_DEP_4) | instskip(NEXT) | instid1(VALU_DEP_4)
	v_add_f64_e32 v[80:81], v[80:81], v[82:83]
	v_fma_f64 v[55:56], v[65:66], s[2:3], v[59:60]
	v_fma_f64 v[59:60], v[65:66], s[16:17], v[59:60]
	s_delay_alu instid0(VALU_DEP_2) | instskip(NEXT) | instid1(VALU_DEP_2)
	v_fma_f64 v[55:56], v[61:62], s[14:15], v[55:56]
	v_fma_f64 v[59:60], v[61:62], s[10:11], v[59:60]
	v_add_f64_e32 v[61:62], v[36:37], v[28:29]
	s_delay_alu instid0(VALU_DEP_3) | instskip(NEXT) | instid1(VALU_DEP_3)
	v_fma_f64 v[55:56], v[63:64], s[8:9], v[55:56]
	v_fma_f64 v[59:60], v[63:64], s[8:9], v[59:60]
	v_add_f64_e32 v[63:64], v[32:33], v[20:21]
	s_delay_alu instid0(VALU_DEP_4) | instskip(NEXT) | instid1(VALU_DEP_2)
	v_add_f64_e32 v[61:62], v[61:62], v[32:33]
	v_fma_f64 v[63:64], v[63:64], -0.5, v[36:37]
	s_delay_alu instid0(VALU_DEP_2) | instskip(SKIP_2) | instid1(VALU_DEP_4)
	v_add_f64_e32 v[61:62], v[61:62], v[20:21]
	v_add_f64_e64 v[20:21], v[32:33], -v[20:21]
	v_add_f64_e64 v[32:33], v[30:31], -v[34:35]
	v_fma_f64 v[65:66], v[67:68], s[2:3], v[63:64]
	v_fma_f64 v[63:64], v[67:68], s[16:17], v[63:64]
	v_add_f64_e32 v[61:62], v[61:62], v[24:25]
	s_delay_alu instid0(VALU_DEP_3) | instskip(NEXT) | instid1(VALU_DEP_3)
	v_fma_f64 v[65:66], v[71:72], s[10:11], v[65:66]
	v_fma_f64 v[63:64], v[71:72], s[14:15], v[63:64]
	s_delay_alu instid0(VALU_DEP_2) | instskip(NEXT) | instid1(VALU_DEP_2)
	v_fma_f64 v[65:66], v[69:70], s[8:9], v[65:66]
	v_fma_f64 v[69:70], v[69:70], s[8:9], v[63:64]
	v_add_f64_e32 v[63:64], v[28:29], v[24:25]
	v_add_f64_e64 v[24:25], v[28:29], -v[24:25]
	s_delay_alu instid0(VALU_DEP_2) | instskip(NEXT) | instid1(VALU_DEP_1)
	v_fma_f64 v[63:64], v[63:64], -0.5, v[36:37]
	v_fma_f64 v[36:37], v[71:72], s[16:17], v[63:64]
	v_fma_f64 v[63:64], v[71:72], s[2:3], v[63:64]
	s_delay_alu instid0(VALU_DEP_2) | instskip(NEXT) | instid1(VALU_DEP_2)
	v_fma_f64 v[36:37], v[67:68], s[10:11], v[36:37]
	v_fma_f64 v[63:64], v[67:68], s[14:15], v[63:64]
	v_add_f64_e32 v[67:68], v[34:35], v[22:23]
	s_delay_alu instid0(VALU_DEP_3) | instskip(NEXT) | instid1(VALU_DEP_3)
	v_fma_f64 v[36:37], v[80:81], s[8:9], v[36:37]
	v_fma_f64 v[80:81], v[80:81], s[8:9], v[63:64]
	s_delay_alu instid0(VALU_DEP_3) | instskip(SKIP_2) | instid1(VALU_DEP_3)
	v_fma_f64 v[71:72], v[67:68], -0.5, v[38:39]
	v_add_f64_e64 v[67:68], v[26:27], -v[22:23]
	v_add_f64_e32 v[63:64], v[38:39], v[30:31]
	v_fma_f64 v[28:29], v[24:25], s[16:17], v[71:72]
	s_delay_alu instid0(VALU_DEP_3) | instskip(NEXT) | instid1(VALU_DEP_3)
	v_add_f64_e32 v[32:33], v[32:33], v[67:68]
	v_add_f64_e32 v[63:64], v[63:64], v[34:35]
	s_delay_alu instid0(VALU_DEP_3) | instskip(NEXT) | instid1(VALU_DEP_2)
	v_fma_f64 v[28:29], v[20:21], s[14:15], v[28:29]
	v_add_f64_e32 v[63:64], v[63:64], v[22:23]
	v_add_f64_e64 v[22:23], v[22:23], -v[26:27]
	s_delay_alu instid0(VALU_DEP_3) | instskip(SKIP_1) | instid1(VALU_DEP_4)
	v_fma_f64 v[67:68], v[32:33], s[8:9], v[28:29]
	v_fma_f64 v[28:29], v[24:25], s[2:3], v[71:72]
	v_add_f64_e32 v[63:64], v[63:64], v[26:27]
	s_delay_alu instid0(VALU_DEP_2) | instskip(NEXT) | instid1(VALU_DEP_1)
	v_fma_f64 v[28:29], v[20:21], s[10:11], v[28:29]
	v_fma_f64 v[71:72], v[32:33], s[8:9], v[28:29]
	v_add_f64_e32 v[28:29], v[30:31], v[26:27]
	v_add_f64_e64 v[30:31], v[34:35], -v[30:31]
	s_delay_alu instid0(VALU_DEP_2) | instskip(NEXT) | instid1(VALU_DEP_2)
	v_fma_f64 v[28:29], v[28:29], -0.5, v[38:39]
	v_add_f64_e32 v[22:23], v[30:31], v[22:23]
	s_delay_alu instid0(VALU_DEP_2) | instskip(SKIP_1) | instid1(VALU_DEP_2)
	v_fma_f64 v[32:33], v[20:21], s[2:3], v[28:29]
	v_fma_f64 v[20:21], v[20:21], s[16:17], v[28:29]
	v_fma_f64 v[32:33], v[24:25], s[14:15], v[32:33]
	s_delay_alu instid0(VALU_DEP_2) | instskip(NEXT) | instid1(VALU_DEP_2)
	v_fma_f64 v[20:21], v[24:25], s[10:11], v[20:21]
	v_fma_f64 v[38:39], v[22:23], s[8:9], v[32:33]
	s_delay_alu instid0(VALU_DEP_2) | instskip(SKIP_1) | instid1(VALU_DEP_1)
	v_fma_f64 v[82:83], v[22:23], s[8:9], v[20:21]
	v_mul_lo_u16 v20, v77, 5
	v_and_b32_e32 v20, 0xffff, v20
	s_delay_alu instid0(VALU_DEP_1)
	v_lshlrev_b32_e32 v20, 4, v20
	scratch_store_b32 off, v20, off offset:256 ; 4-byte Folded Spill
	ds_store_b128 v20, v[0:3]
	ds_store_b128 v20, v[4:7] offset:16
	ds_store_b128 v20, v[12:15] offset:32
	;; [unrolled: 1-line block ×4, first 2 shown]
	v_mul_u32_u24_e32 v0, 5, v76
	s_delay_alu instid0(VALU_DEP_1)
	v_lshlrev_b32_e32 v0, 4, v0
	scratch_store_b32 off, v0, off offset:252 ; 4-byte Folded Spill
	ds_store_b128 v0, v[41:44]
	ds_store_b128 v0, v[45:48] offset:16
	ds_store_b128 v0, v[53:56] offset:32
	;; [unrolled: 1-line block ×4, first 2 shown]
	v_mul_u32_u24_e32 v0, 5, v78
	v_and_b32_e32 v41, 0xff, v77
	s_delay_alu instid0(VALU_DEP_2) | instskip(NEXT) | instid1(VALU_DEP_2)
	v_lshlrev_b32_e32 v0, 4, v0
	v_mul_lo_u16 v20, 0xcd, v41
	v_mul_lo_u16 v41, v41, 41
	scratch_store_b32 off, v0, off offset:248 ; 4-byte Folded Spill
	ds_store_b128 v0, v[61:64]
	ds_store_b128 v0, v[65:68] offset:16
	ds_store_b128 v0, v[36:39] offset:32
	;; [unrolled: 1-line block ×4, first 2 shown]
	v_lshrrev_b16 v82, 10, v20
	global_wb scope:SCOPE_SE
	s_wait_storecnt_dscnt 0x0
	s_barrier_signal -1
	s_barrier_wait -1
	global_inv scope:SCOPE_SE
	v_mul_lo_u16 v20, v82, 5
	ds_load_b128 v[8:11], v40
	ds_load_b128 v[24:27], v40 offset:10800
	ds_load_b128 v[28:31], v40 offset:21600
	;; [unrolled: 1-line block ×14, first 2 shown]
	v_and_b32_e32 v80, 0xffff, v76
	v_and_b32_e32 v81, 0xffff, v78
	v_lshrrev_b16 v41, 10, v41
	v_sub_nc_u16 v20, v77, v20
	s_delay_alu instid0(VALU_DEP_1) | instskip(NEXT) | instid1(VALU_DEP_1)
	v_and_b32_e32 v83, 0xff, v20
	v_lshlrev_b32_e32 v20, 6, v83
	s_clause 0x3
	global_load_b128 v[36:39], v20, s[6:7] offset:16
	global_load_b128 v[32:35], v20, s[6:7]
	global_load_b128 v[50:53], v20, s[6:7] offset:48
	global_load_b128 v[54:57], v20, s[6:7] offset:32
	s_wait_loadcnt 0x3
	scratch_store_b128 off, v[36:39], off offset:292 ; 16-byte Folded Spill
	s_wait_loadcnt 0x2
	scratch_store_b128 off, v[32:35], off offset:308 ; 16-byte Folded Spill
	s_wait_dscnt 0xd
	v_mul_f64_e32 v[20:21], v[26:27], v[34:35]
	s_wait_loadcnt 0x1
	scratch_store_b128 off, v[50:53], off offset:260 ; 16-byte Folded Spill
	s_wait_loadcnt 0x0
	scratch_store_b128 off, v[54:57], off offset:276 ; 16-byte Folded Spill
	v_fma_f64 v[22:23], v[24:25], v[32:33], -v[20:21]
	v_mul_f64_e32 v[20:21], v[24:25], v[34:35]
	s_delay_alu instid0(VALU_DEP_1) | instskip(SKIP_2) | instid1(VALU_DEP_1)
	v_fma_f64 v[26:27], v[26:27], v[32:33], v[20:21]
	s_wait_dscnt 0xc
	v_mul_f64_e32 v[20:21], v[30:31], v[38:39]
	v_fma_f64 v[34:35], v[28:29], v[36:37], -v[20:21]
	v_mul_f64_e32 v[20:21], v[28:29], v[38:39]
	s_delay_alu instid0(VALU_DEP_1) | instskip(SKIP_2) | instid1(VALU_DEP_1)
	v_fma_f64 v[28:29], v[30:31], v[36:37], v[20:21]
	s_wait_dscnt 0xb
	v_mul_f64_e32 v[20:21], v[44:45], v[56:57]
	v_fma_f64 v[36:37], v[42:43], v[54:55], -v[20:21]
	v_mul_f64_e32 v[20:21], v[42:43], v[56:57]
	s_delay_alu instid0(VALU_DEP_1) | instskip(SKIP_2) | instid1(VALU_DEP_2)
	v_fma_f64 v[30:31], v[44:45], v[54:55], v[20:21]
	s_wait_dscnt 0xa
	v_mul_f64_e32 v[20:21], v[48:49], v[52:53]
	v_add_f64_e64 v[24:25], v[28:29], -v[30:31]
	s_delay_alu instid0(VALU_DEP_2) | instskip(SKIP_1) | instid1(VALU_DEP_1)
	v_fma_f64 v[38:39], v[46:47], v[50:51], -v[20:21]
	v_mul_f64_e32 v[20:21], v[46:47], v[52:53]
	v_fma_f64 v[32:33], v[48:49], v[50:51], v[20:21]
	v_mul_u32_u24_e32 v20, 0xcccd, v80
	s_delay_alu instid0(VALU_DEP_1) | instskip(NEXT) | instid1(VALU_DEP_1)
	v_lshrrev_b32_e32 v84, 18, v20
	v_mul_lo_u16 v20, v84, 5
	s_delay_alu instid0(VALU_DEP_1) | instskip(NEXT) | instid1(VALU_DEP_1)
	v_sub_nc_u16 v85, v76, v20
	v_lshlrev_b16 v20, 2, v85
	s_delay_alu instid0(VALU_DEP_1) | instskip(NEXT) | instid1(VALU_DEP_1)
	v_and_b32_e32 v20, 0xffff, v20
	v_lshlrev_b32_e32 v20, 4, v20
	s_clause 0x3
	global_load_b128 v[62:65], v20, s[6:7] offset:16
	global_load_b128 v[48:51], v20, s[6:7]
	global_load_b128 v[44:47], v20, s[6:7] offset:48
	global_load_b128 v[52:55], v20, s[6:7] offset:32
	s_wait_loadcnt 0x3
	scratch_store_b128 off, v[62:65], off offset:360 ; 16-byte Folded Spill
	s_wait_loadcnt 0x2
	scratch_store_b128 off, v[48:51], off offset:376 ; 16-byte Folded Spill
	s_wait_dscnt 0x8
	v_mul_f64_e32 v[20:21], v[106:107], v[50:51]
	s_wait_loadcnt 0x1
	scratch_store_b128 off, v[44:47], off offset:344 ; 16-byte Folded Spill
	s_wait_loadcnt 0x0
	scratch_store_b128 off, v[52:55], off offset:328 ; 16-byte Folded Spill
	v_fma_f64 v[58:59], v[104:105], v[48:49], -v[20:21]
	v_mul_f64_e32 v[20:21], v[104:105], v[50:51]
	s_delay_alu instid0(VALU_DEP_1) | instskip(SKIP_2) | instid1(VALU_DEP_1)
	v_fma_f64 v[42:43], v[106:107], v[48:49], v[20:21]
	s_wait_dscnt 0x7
	v_mul_f64_e32 v[20:21], v[102:103], v[64:65]
	v_fma_f64 v[60:61], v[100:101], v[62:63], -v[20:21]
	v_mul_f64_e32 v[20:21], v[100:101], v[64:65]
	s_delay_alu instid0(VALU_DEP_1) | instskip(SKIP_2) | instid1(VALU_DEP_1)
	v_fma_f64 v[50:51], v[102:103], v[62:63], v[20:21]
	s_wait_dscnt 0x6
	v_mul_f64_e32 v[20:21], v[98:99], v[54:55]
	;; [unrolled: 6-line block ×3, first 2 shown]
	v_fma_f64 v[64:65], v[92:93], v[44:45], -v[20:21]
	v_mul_f64_e32 v[20:21], v[92:93], v[46:47]
	s_delay_alu instid0(VALU_DEP_1) | instskip(SKIP_1) | instid1(VALU_DEP_1)
	v_fma_f64 v[54:55], v[94:95], v[44:45], v[20:21]
	v_mul_u32_u24_e32 v20, 0xcccd, v81
	v_lshrrev_b32_e32 v86, 18, v20
	s_delay_alu instid0(VALU_DEP_1) | instskip(NEXT) | instid1(VALU_DEP_1)
	v_mul_lo_u16 v20, v86, 5
	v_sub_nc_u16 v87, v78, v20
	s_delay_alu instid0(VALU_DEP_1) | instskip(NEXT) | instid1(VALU_DEP_1)
	v_lshlrev_b16 v20, 2, v87
	v_and_b32_e32 v20, 0xffff, v20
	s_delay_alu instid0(VALU_DEP_1)
	v_lshlrev_b32_e32 v20, 4, v20
	s_clause 0x3
	global_load_b128 v[70:73], v20, s[6:7] offset:48
	global_load_b128 v[90:93], v20, s[6:7] offset:32
	;; [unrolled: 1-line block ×3, first 2 shown]
	global_load_b128 v[44:47], v20, s[6:7]
	s_wait_loadcnt 0x3
	scratch_store_b128 off, v[70:73], off offset:496 ; 16-byte Folded Spill
	s_wait_loadcnt 0x2
	scratch_store_b128 off, v[90:93], off offset:480 ; 16-byte Folded Spill
	;; [unrolled: 2-line block ×3, first 2 shown]
	s_wait_loadcnt_dscnt 0x3
	v_mul_f64_e32 v[20:21], v[114:115], v[46:47]
	scratch_store_b128 off, v[44:47], off offset:444 ; 16-byte Folded Spill
	global_wb scope:SCOPE_SE
	s_wait_storecnt_dscnt 0x0
	s_barrier_signal -1
	s_barrier_wait -1
	global_inv scope:SCOPE_SE
	v_fma_f64 v[66:67], v[112:113], v[44:45], -v[20:21]
	v_mul_f64_e32 v[20:21], v[112:113], v[46:47]
	s_delay_alu instid0(VALU_DEP_1) | instskip(SKIP_1) | instid1(VALU_DEP_1)
	v_fma_f64 v[44:45], v[114:115], v[44:45], v[20:21]
	v_mul_f64_e32 v[20:21], v[110:111], v[96:97]
	v_fma_f64 v[68:69], v[108:109], v[94:95], -v[20:21]
	v_mul_f64_e32 v[20:21], v[108:109], v[96:97]
	s_delay_alu instid0(VALU_DEP_1) | instskip(SKIP_1) | instid1(VALU_DEP_1)
	v_fma_f64 v[46:47], v[110:111], v[94:95], v[20:21]
	v_mul_f64_e32 v[20:21], v[18:19], v[92:93]
	v_fma_f64 v[88:89], v[16:17], v[90:91], -v[20:21]
	v_mul_f64_e32 v[16:17], v[16:17], v[92:93]
	v_add_f64_e64 v[20:21], v[22:23], -v[34:35]
	s_delay_alu instid0(VALU_DEP_2) | instskip(SKIP_2) | instid1(VALU_DEP_2)
	v_fma_f64 v[48:49], v[18:19], v[90:91], v[16:17]
	v_mul_f64_e32 v[16:17], v[14:15], v[72:73]
	v_add_f64_e64 v[18:19], v[26:27], -v[32:33]
	v_fma_f64 v[90:91], v[12:13], v[70:71], -v[16:17]
	v_mul_f64_e32 v[12:13], v[12:13], v[72:73]
	v_add_f64_e64 v[72:73], v[36:37], -v[38:39]
	s_delay_alu instid0(VALU_DEP_2) | instskip(SKIP_3) | instid1(VALU_DEP_3)
	v_fma_f64 v[56:57], v[14:15], v[70:71], v[12:13]
	v_add_f64_e32 v[14:15], v[34:35], v[36:37]
	v_add_f64_e64 v[70:71], v[38:39], -v[36:37]
	v_add_f64_e32 v[12:13], v[8:9], v[22:23]
	v_fma_f64 v[14:15], v[14:15], -0.5, v[8:9]
	s_delay_alu instid0(VALU_DEP_3) | instskip(NEXT) | instid1(VALU_DEP_3)
	v_add_f64_e32 v[70:71], v[20:21], v[70:71]
	v_add_f64_e32 v[12:13], v[12:13], v[34:35]
	s_delay_alu instid0(VALU_DEP_3) | instskip(SKIP_1) | instid1(VALU_DEP_3)
	v_fma_f64 v[16:17], v[18:19], s[2:3], v[14:15]
	v_fma_f64 v[14:15], v[18:19], s[16:17], v[14:15]
	v_add_f64_e32 v[12:13], v[12:13], v[36:37]
	s_delay_alu instid0(VALU_DEP_3) | instskip(NEXT) | instid1(VALU_DEP_3)
	v_fma_f64 v[16:17], v[24:25], s[10:11], v[16:17]
	v_fma_f64 v[14:15], v[24:25], s[14:15], v[14:15]
	s_delay_alu instid0(VALU_DEP_3) | instskip(NEXT) | instid1(VALU_DEP_3)
	v_add_f64_e32 v[12:13], v[12:13], v[38:39]
	v_fma_f64 v[20:21], v[70:71], s[8:9], v[16:17]
	s_delay_alu instid0(VALU_DEP_3)
	v_fma_f64 v[16:17], v[70:71], s[8:9], v[14:15]
	v_add_f64_e32 v[14:15], v[22:23], v[38:39]
	v_add_f64_e64 v[70:71], v[34:35], -v[22:23]
	v_add_f64_e64 v[38:39], v[22:23], -v[38:39]
	;; [unrolled: 1-line block ×4, first 2 shown]
	v_fma_f64 v[14:15], v[14:15], -0.5, v[8:9]
	v_add_f64_e32 v[70:71], v[70:71], v[72:73]
	v_add_f64_e64 v[72:73], v[62:63], -v[64:65]
	s_delay_alu instid0(VALU_DEP_3) | instskip(SKIP_1) | instid1(VALU_DEP_2)
	v_fma_f64 v[8:9], v[24:25], s[16:17], v[14:15]
	v_fma_f64 v[14:15], v[24:25], s[2:3], v[14:15]
	;; [unrolled: 1-line block ×3, first 2 shown]
	s_delay_alu instid0(VALU_DEP_2) | instskip(SKIP_1) | instid1(VALU_DEP_3)
	v_fma_f64 v[14:15], v[18:19], s[14:15], v[14:15]
	v_add_f64_e32 v[18:19], v[28:29], v[30:31]
	v_fma_f64 v[8:9], v[70:71], s[8:9], v[8:9]
	s_delay_alu instid0(VALU_DEP_3) | instskip(NEXT) | instid1(VALU_DEP_3)
	v_fma_f64 v[24:25], v[70:71], s[8:9], v[14:15]
	v_fma_f64 v[18:19], v[18:19], -0.5, v[10:11]
	v_add_f64_e64 v[70:71], v[32:33], -v[30:31]
	v_add_f64_e32 v[14:15], v[10:11], v[26:27]
	s_delay_alu instid0(VALU_DEP_3) | instskip(SKIP_1) | instid1(VALU_DEP_4)
	v_fma_f64 v[22:23], v[38:39], s[16:17], v[18:19]
	v_fma_f64 v[18:19], v[38:39], s[2:3], v[18:19]
	v_add_f64_e32 v[36:37], v[36:37], v[70:71]
	s_delay_alu instid0(VALU_DEP_4) | instskip(SKIP_3) | instid1(VALU_DEP_4)
	v_add_f64_e32 v[14:15], v[14:15], v[28:29]
	v_add_f64_e64 v[70:71], v[64:65], -v[62:63]
	v_fma_f64 v[22:23], v[34:35], s[14:15], v[22:23]
	v_fma_f64 v[18:19], v[34:35], s[10:11], v[18:19]
	v_add_f64_e32 v[14:15], v[14:15], v[30:31]
	s_delay_alu instid0(VALU_DEP_3) | instskip(NEXT) | instid1(VALU_DEP_3)
	v_fma_f64 v[22:23], v[36:37], s[8:9], v[22:23]
	v_fma_f64 v[18:19], v[36:37], s[8:9], v[18:19]
	v_add_f64_e32 v[36:37], v[26:27], v[32:33]
	v_add_f64_e64 v[26:27], v[28:29], -v[26:27]
	v_add_f64_e64 v[28:29], v[30:31], -v[32:33]
	v_add_f64_e32 v[30:31], v[60:61], v[62:63]
	v_add_f64_e32 v[14:15], v[14:15], v[32:33]
	v_fma_f64 v[36:37], v[36:37], -0.5, v[10:11]
	s_delay_alu instid0(VALU_DEP_4) | instskip(NEXT) | instid1(VALU_DEP_4)
	v_add_f64_e32 v[26:27], v[26:27], v[28:29]
	v_fma_f64 v[30:31], v[30:31], -0.5, v[4:5]
	s_delay_alu instid0(VALU_DEP_3) | instskip(SKIP_3) | instid1(VALU_DEP_4)
	v_fma_f64 v[10:11], v[34:35], s[2:3], v[36:37]
	v_fma_f64 v[28:29], v[34:35], s[16:17], v[36:37]
	v_add_f64_e64 v[34:35], v[42:43], -v[54:55]
	v_add_f64_e64 v[36:37], v[58:59], -v[60:61]
	v_fma_f64 v[10:11], v[38:39], s[14:15], v[10:11]
	s_delay_alu instid0(VALU_DEP_4) | instskip(NEXT) | instid1(VALU_DEP_4)
	v_fma_f64 v[28:29], v[38:39], s[10:11], v[28:29]
	v_fma_f64 v[32:33], v[34:35], s[2:3], v[30:31]
	v_add_f64_e64 v[38:39], v[50:51], -v[52:53]
	v_fma_f64 v[30:31], v[34:35], s[16:17], v[30:31]
	v_add_f64_e32 v[70:71], v[36:37], v[70:71]
	v_fma_f64 v[10:11], v[26:27], s[8:9], v[10:11]
	v_fma_f64 v[26:27], v[26:27], s[8:9], v[28:29]
	v_add_f64_e32 v[28:29], v[4:5], v[58:59]
	v_fma_f64 v[32:33], v[38:39], s[10:11], v[32:33]
	v_fma_f64 v[30:31], v[38:39], s[14:15], v[30:31]
	s_delay_alu instid0(VALU_DEP_3) | instskip(NEXT) | instid1(VALU_DEP_3)
	v_add_f64_e32 v[28:29], v[28:29], v[60:61]
	v_fma_f64 v[36:37], v[70:71], s[8:9], v[32:33]
	s_delay_alu instid0(VALU_DEP_3)
	v_fma_f64 v[32:33], v[70:71], s[8:9], v[30:31]
	v_add_f64_e32 v[30:31], v[58:59], v[64:65]
	v_add_f64_e64 v[70:71], v[60:61], -v[58:59]
	v_add_f64_e64 v[58:59], v[58:59], -v[64:65]
	;; [unrolled: 1-line block ×3, first 2 shown]
	v_add_f64_e32 v[28:29], v[28:29], v[62:63]
	v_add_f64_e64 v[62:63], v[42:43], -v[50:51]
	v_fma_f64 v[30:31], v[30:31], -0.5, v[4:5]
	v_add_f64_e32 v[70:71], v[70:71], v[72:73]
	s_delay_alu instid0(VALU_DEP_4) | instskip(SKIP_1) | instid1(VALU_DEP_4)
	v_add_f64_e32 v[28:29], v[28:29], v[64:65]
	v_add_f64_e64 v[64:65], v[54:55], -v[52:53]
	v_fma_f64 v[4:5], v[38:39], s[16:17], v[30:31]
	v_fma_f64 v[30:31], v[38:39], s[2:3], v[30:31]
	s_delay_alu instid0(VALU_DEP_3) | instskip(SKIP_1) | instid1(VALU_DEP_4)
	v_add_f64_e32 v[62:63], v[62:63], v[64:65]
	v_add_f64_e64 v[64:65], v[88:89], -v[90:91]
	v_fma_f64 v[4:5], v[34:35], s[10:11], v[4:5]
	s_delay_alu instid0(VALU_DEP_4) | instskip(SKIP_1) | instid1(VALU_DEP_3)
	v_fma_f64 v[30:31], v[34:35], s[14:15], v[30:31]
	v_add_f64_e32 v[34:35], v[50:51], v[52:53]
	v_fma_f64 v[4:5], v[70:71], s[8:9], v[4:5]
	s_delay_alu instid0(VALU_DEP_3) | instskip(NEXT) | instid1(VALU_DEP_3)
	v_fma_f64 v[70:71], v[70:71], s[8:9], v[30:31]
	v_fma_f64 v[34:35], v[34:35], -0.5, v[6:7]
	v_add_f64_e32 v[30:31], v[6:7], v[42:43]
	s_delay_alu instid0(VALU_DEP_2) | instskip(SKIP_1) | instid1(VALU_DEP_3)
	v_fma_f64 v[38:39], v[58:59], s[16:17], v[34:35]
	v_fma_f64 v[34:35], v[58:59], s[2:3], v[34:35]
	v_add_f64_e32 v[30:31], v[30:31], v[50:51]
	s_delay_alu instid0(VALU_DEP_3) | instskip(NEXT) | instid1(VALU_DEP_3)
	v_fma_f64 v[38:39], v[60:61], s[14:15], v[38:39]
	v_fma_f64 v[34:35], v[60:61], s[10:11], v[34:35]
	s_delay_alu instid0(VALU_DEP_3) | instskip(NEXT) | instid1(VALU_DEP_3)
	v_add_f64_e32 v[30:31], v[30:31], v[52:53]
	v_fma_f64 v[38:39], v[62:63], s[8:9], v[38:39]
	s_delay_alu instid0(VALU_DEP_3)
	v_fma_f64 v[34:35], v[62:63], s[8:9], v[34:35]
	v_add_f64_e32 v[62:63], v[42:43], v[54:55]
	v_add_f64_e64 v[42:43], v[50:51], -v[42:43]
	v_add_f64_e64 v[50:51], v[52:53], -v[54:55]
	;; [unrolled: 1-line block ×3, first 2 shown]
	v_add_f64_e32 v[30:31], v[30:31], v[54:55]
	v_fma_f64 v[62:63], v[62:63], -0.5, v[6:7]
	s_delay_alu instid0(VALU_DEP_4) | instskip(NEXT) | instid1(VALU_DEP_2)
	v_add_f64_e32 v[42:43], v[42:43], v[50:51]
	v_fma_f64 v[6:7], v[60:61], s[2:3], v[62:63]
	v_fma_f64 v[50:51], v[60:61], s[16:17], v[62:63]
	v_add_f64_e64 v[60:61], v[46:47], -v[48:49]
	v_add_f64_e64 v[62:63], v[90:91], -v[88:89]
	s_delay_alu instid0(VALU_DEP_4) | instskip(NEXT) | instid1(VALU_DEP_4)
	v_fma_f64 v[6:7], v[58:59], s[14:15], v[6:7]
	v_fma_f64 v[50:51], v[58:59], s[10:11], v[50:51]
	v_add_f64_e64 v[58:59], v[66:67], -v[68:69]
	s_delay_alu instid0(VALU_DEP_3) | instskip(NEXT) | instid1(VALU_DEP_3)
	v_fma_f64 v[6:7], v[42:43], s[8:9], v[6:7]
	v_fma_f64 v[72:73], v[42:43], s[8:9], v[50:51]
	v_add_f64_e32 v[42:43], v[0:1], v[66:67]
	s_delay_alu instid0(VALU_DEP_4) | instskip(NEXT) | instid1(VALU_DEP_2)
	v_add_f64_e32 v[62:63], v[58:59], v[62:63]
	v_add_f64_e32 v[42:43], v[42:43], v[68:69]
	s_delay_alu instid0(VALU_DEP_1) | instskip(NEXT) | instid1(VALU_DEP_1)
	v_add_f64_e32 v[42:43], v[42:43], v[88:89]
	v_add_f64_e32 v[50:51], v[42:43], v[90:91]
	;; [unrolled: 1-line block ×3, first 2 shown]
	s_delay_alu instid0(VALU_DEP_1) | instskip(NEXT) | instid1(VALU_DEP_1)
	v_fma_f64 v[42:43], v[42:43], -0.5, v[0:1]
	v_fma_f64 v[54:55], v[52:53], s[2:3], v[42:43]
	v_fma_f64 v[42:43], v[52:53], s[16:17], v[42:43]
	s_delay_alu instid0(VALU_DEP_2) | instskip(NEXT) | instid1(VALU_DEP_2)
	v_fma_f64 v[54:55], v[60:61], s[10:11], v[54:55]
	v_fma_f64 v[42:43], v[60:61], s[14:15], v[42:43]
	s_delay_alu instid0(VALU_DEP_2) | instskip(NEXT) | instid1(VALU_DEP_2)
	v_fma_f64 v[58:59], v[62:63], s[8:9], v[54:55]
	v_fma_f64 v[62:63], v[62:63], s[8:9], v[42:43]
	v_add_f64_e32 v[42:43], v[66:67], v[90:91]
	v_add_f64_e64 v[54:55], v[68:69], -v[66:67]
	v_add_f64_e64 v[66:67], v[66:67], -v[90:91]
	;; [unrolled: 1-line block ×4, first 2 shown]
	v_fma_f64 v[42:43], v[42:43], -0.5, v[0:1]
	v_add_f64_e32 v[54:55], v[54:55], v[64:65]
	v_add_f64_e64 v[64:65], v[44:45], -v[46:47]
	s_delay_alu instid0(VALU_DEP_3) | instskip(SKIP_1) | instid1(VALU_DEP_3)
	v_fma_f64 v[0:1], v[60:61], s[16:17], v[42:43]
	v_fma_f64 v[42:43], v[60:61], s[2:3], v[42:43]
	v_add_f64_e32 v[64:65], v[64:65], v[88:89]
	s_delay_alu instid0(VALU_DEP_3) | instskip(NEXT) | instid1(VALU_DEP_3)
	v_fma_f64 v[0:1], v[52:53], s[10:11], v[0:1]
	v_fma_f64 v[42:43], v[52:53], s[14:15], v[42:43]
	v_add_f64_e32 v[52:53], v[2:3], v[44:45]
	s_delay_alu instid0(VALU_DEP_3) | instskip(NEXT) | instid1(VALU_DEP_3)
	v_fma_f64 v[0:1], v[54:55], s[8:9], v[0:1]
	v_fma_f64 v[42:43], v[54:55], s[8:9], v[42:43]
	v_add_f64_e32 v[54:55], v[46:47], v[48:49]
	s_delay_alu instid0(VALU_DEP_4) | instskip(NEXT) | instid1(VALU_DEP_2)
	v_add_f64_e32 v[52:53], v[52:53], v[46:47]
	v_fma_f64 v[54:55], v[54:55], -0.5, v[2:3]
	s_delay_alu instid0(VALU_DEP_2) | instskip(NEXT) | instid1(VALU_DEP_2)
	v_add_f64_e32 v[52:53], v[52:53], v[48:49]
	v_fma_f64 v[60:61], v[66:67], s[16:17], v[54:55]
	v_fma_f64 v[54:55], v[66:67], s[2:3], v[54:55]
	s_delay_alu instid0(VALU_DEP_3) | instskip(NEXT) | instid1(VALU_DEP_3)
	v_add_f64_e32 v[52:53], v[52:53], v[56:57]
	v_fma_f64 v[60:61], v[68:69], s[14:15], v[60:61]
	s_delay_alu instid0(VALU_DEP_3) | instskip(NEXT) | instid1(VALU_DEP_2)
	v_fma_f64 v[54:55], v[68:69], s[10:11], v[54:55]
	v_fma_f64 v[60:61], v[64:65], s[8:9], v[60:61]
	s_delay_alu instid0(VALU_DEP_2) | instskip(SKIP_3) | instid1(VALU_DEP_3)
	v_fma_f64 v[64:65], v[64:65], s[8:9], v[54:55]
	v_add_f64_e32 v[54:55], v[44:45], v[56:57]
	v_add_f64_e64 v[44:45], v[46:47], -v[44:45]
	v_add_f64_e64 v[46:47], v[48:49], -v[56:57]
	v_fma_f64 v[54:55], v[54:55], -0.5, v[2:3]
	s_delay_alu instid0(VALU_DEP_2) | instskip(NEXT) | instid1(VALU_DEP_2)
	v_add_f64_e32 v[44:45], v[44:45], v[46:47]
	v_fma_f64 v[2:3], v[68:69], s[2:3], v[54:55]
	v_fma_f64 v[46:47], v[68:69], s[16:17], v[54:55]
	s_delay_alu instid0(VALU_DEP_2) | instskip(NEXT) | instid1(VALU_DEP_2)
	v_fma_f64 v[2:3], v[66:67], s[14:15], v[2:3]
	v_fma_f64 v[46:47], v[66:67], s[10:11], v[46:47]
	s_delay_alu instid0(VALU_DEP_2) | instskip(NEXT) | instid1(VALU_DEP_2)
	v_fma_f64 v[2:3], v[44:45], s[8:9], v[2:3]
	v_fma_f64 v[44:45], v[44:45], s[8:9], v[46:47]
	v_and_b32_e32 v46, 0xffff, v82
	s_delay_alu instid0(VALU_DEP_1) | instskip(NEXT) | instid1(VALU_DEP_1)
	v_mul_u32_u24_e32 v46, 25, v46
	v_add_lshl_u32 v46, v46, v83, 4
	scratch_store_b32 off, v46, off offset:512 ; 4-byte Folded Spill
	ds_store_b128 v46, v[12:15]
	ds_store_b128 v46, v[20:23] offset:80
	ds_store_b128 v46, v[8:11] offset:160
	;; [unrolled: 1-line block ×4, first 2 shown]
	v_mad_u16 v8, v84, 25, v85
	s_delay_alu instid0(VALU_DEP_1) | instskip(NEXT) | instid1(VALU_DEP_1)
	v_and_b32_e32 v8, 0xffff, v8
	v_lshlrev_b32_e32 v8, 4, v8
	scratch_store_b32 off, v8, off offset:476 ; 4-byte Folded Spill
	ds_store_b128 v8, v[28:31]
	ds_store_b128 v8, v[36:39] offset:80
	ds_store_b128 v8, v[4:7] offset:160
	;; [unrolled: 1-line block ×4, first 2 shown]
	v_mad_u16 v4, v86, 25, v87
	s_delay_alu instid0(VALU_DEP_1) | instskip(NEXT) | instid1(VALU_DEP_1)
	v_and_b32_e32 v4, 0xffff, v4
	v_lshlrev_b32_e32 v4, 4, v4
	scratch_store_b32 off, v4, off offset:392 ; 4-byte Folded Spill
	ds_store_b128 v4, v[50:53]
	ds_store_b128 v4, v[58:61] offset:80
	ds_store_b128 v4, v[0:3] offset:160
	;; [unrolled: 1-line block ×4, first 2 shown]
	v_mul_lo_u16 v42, v41, 25
	global_wb scope:SCOPE_SE
	s_wait_storecnt_dscnt 0x0
	s_barrier_signal -1
	s_barrier_wait -1
	global_inv scope:SCOPE_SE
	v_sub_nc_u16 v42, v77, v42
	ds_load_b128 v[8:11], v40
	ds_load_b128 v[28:31], v40 offset:10800
	ds_load_b128 v[32:35], v40 offset:21600
	;; [unrolled: 1-line block ×14, first 2 shown]
	v_and_b32_e32 v70, 0xff, v42
	s_delay_alu instid0(VALU_DEP_1)
	v_lshlrev_b32_e32 v42, 6, v70
	s_clause 0x3
	global_load_b128 v[92:95], v42, s[6:7] offset:368
	global_load_b128 v[96:99], v42, s[6:7] offset:352
	;; [unrolled: 1-line block ×4, first 2 shown]
	s_wait_loadcnt 0x1
	scratch_store_b128 off, v[46:49], off offset:428 ; 16-byte Folded Spill
	s_wait_loadcnt_dscnt 0xd
	v_mul_f64_e32 v[42:43], v[30:31], v[122:123]
	s_delay_alu instid0(VALU_DEP_1) | instskip(SKIP_1) | instid1(VALU_DEP_1)
	v_fma_f64 v[86:87], v[28:29], v[120:121], -v[42:43]
	v_mul_f64_e32 v[28:29], v[28:29], v[122:123]
	v_fma_f64 v[44:45], v[30:31], v[120:121], v[28:29]
	s_wait_dscnt 0xc
	v_mul_f64_e32 v[28:29], v[34:35], v[48:49]
	s_delay_alu instid0(VALU_DEP_1)
	v_fma_f64 v[88:89], v[32:33], v[46:47], -v[28:29]
	v_mul_f64_e32 v[28:29], v[32:33], v[48:49]
	v_mov_b32_e32 v30, v92
	v_dual_mov_b32 v32, v94 :: v_dual_mov_b32 v33, v95
	v_mov_b32_e32 v31, v93
	s_clause 0x1
	scratch_store_b128 off, v[96:99], off offset:412
	scratch_store_b128 off, v[30:33], off offset:396
	v_fma_f64 v[48:49], v[34:35], v[46:47], v[28:29]
	s_wait_dscnt 0xb
	v_mul_f64_e32 v[28:29], v[38:39], v[98:99]
	s_delay_alu instid0(VALU_DEP_1) | instskip(SKIP_1) | instid1(VALU_DEP_1)
	v_fma_f64 v[90:91], v[36:37], v[96:97], -v[28:29]
	v_mul_f64_e32 v[28:29], v[36:37], v[98:99]
	v_fma_f64 v[46:47], v[38:39], v[96:97], v[28:29]
	s_wait_dscnt 0xa
	v_mul_f64_e32 v[28:29], v[52:53], v[32:33]
	s_delay_alu instid0(VALU_DEP_1) | instskip(SKIP_1) | instid1(VALU_DEP_1)
	v_fma_f64 v[92:93], v[50:51], v[30:31], -v[28:29]
	v_mul_f64_e32 v[28:29], v[50:51], v[32:33]
	v_fma_f64 v[50:51], v[52:53], v[30:31], v[28:29]
	v_mul_u32_u24_e32 v28, 0x47af, v80
	s_delay_alu instid0(VALU_DEP_1) | instskip(NEXT) | instid1(VALU_DEP_1)
	v_lshrrev_b32_e32 v28, 16, v28
	v_sub_nc_u16 v29, v76, v28
	s_delay_alu instid0(VALU_DEP_1) | instskip(NEXT) | instid1(VALU_DEP_1)
	v_lshrrev_b16 v29, 1, v29
	v_add_nc_u16 v28, v29, v28
	s_delay_alu instid0(VALU_DEP_1) | instskip(NEXT) | instid1(VALU_DEP_1)
	v_lshrrev_b16 v71, 4, v28
	v_mul_lo_u16 v28, v71, 25
	s_delay_alu instid0(VALU_DEP_1) | instskip(NEXT) | instid1(VALU_DEP_1)
	v_sub_nc_u16 v72, v76, v28
	v_lshlrev_b16 v28, 6, v72
	s_delay_alu instid0(VALU_DEP_1) | instskip(NEXT) | instid1(VALU_DEP_1)
	v_and_b32_e32 v28, 0xffff, v28
	v_add_co_u32 v28, s20, s6, v28
	s_delay_alu instid0(VALU_DEP_1)
	v_add_co_ci_u32_e64 v29, null, s7, 0, s20
	s_clause 0x3
	global_load_b128 v[128:131], v[28:29], off offset:368
	global_load_b128 v[132:135], v[28:29], off offset:352
	global_load_b128 v[140:143], v[28:29], off offset:336
	global_load_b128 v[144:147], v[28:29], off offset:320
	s_wait_loadcnt_dscnt 0x8
	v_mul_f64_e32 v[28:29], v[58:59], v[146:147]
	s_delay_alu instid0(VALU_DEP_1) | instskip(SKIP_1) | instid1(VALU_DEP_1)
	v_fma_f64 v[54:55], v[56:57], v[144:145], -v[28:29]
	v_mul_f64_e32 v[28:29], v[56:57], v[146:147]
	v_fma_f64 v[30:31], v[58:59], v[144:145], v[28:29]
	s_wait_dscnt 0x7
	v_mul_f64_e32 v[28:29], v[62:63], v[142:143]
	s_delay_alu instid0(VALU_DEP_1) | instskip(SKIP_1) | instid1(VALU_DEP_1)
	v_fma_f64 v[56:57], v[60:61], v[140:141], -v[28:29]
	v_mul_f64_e32 v[28:29], v[60:61], v[142:143]
	v_fma_f64 v[36:37], v[62:63], v[140:141], v[28:29]
	s_wait_dscnt 0x6
	;; [unrolled: 6-line block ×3, first 2 shown]
	v_mul_f64_e32 v[28:29], v[84:85], v[130:131]
	s_delay_alu instid0(VALU_DEP_1) | instskip(SKIP_1) | instid1(VALU_DEP_1)
	v_fma_f64 v[64:65], v[82:83], v[128:129], -v[28:29]
	v_mul_f64_e32 v[28:29], v[82:83], v[130:131]
	v_fma_f64 v[42:43], v[84:85], v[128:129], v[28:29]
	v_mul_u32_u24_e32 v28, 0x47af, v81
	v_add_f64_e64 v[83:84], v[88:89], -v[90:91]
	s_delay_alu instid0(VALU_DEP_2) | instskip(NEXT) | instid1(VALU_DEP_1)
	v_lshrrev_b32_e32 v28, 16, v28
	v_sub_nc_u16 v29, v78, v28
	s_delay_alu instid0(VALU_DEP_1) | instskip(NEXT) | instid1(VALU_DEP_1)
	v_lshrrev_b16 v29, 1, v29
	v_add_nc_u16 v28, v29, v28
	s_delay_alu instid0(VALU_DEP_1) | instskip(NEXT) | instid1(VALU_DEP_1)
	v_lshrrev_b16 v73, 4, v28
	v_mul_lo_u16 v28, v73, 25
	s_delay_alu instid0(VALU_DEP_1) | instskip(NEXT) | instid1(VALU_DEP_1)
	v_sub_nc_u16 v82, v78, v28
	v_lshlrev_b16 v28, 6, v82
	s_delay_alu instid0(VALU_DEP_1) | instskip(NEXT) | instid1(VALU_DEP_1)
	v_and_b32_e32 v28, 0xffff, v28
	v_add_co_u32 v28, s20, s6, v28
	s_wait_alu 0xf1ff
	v_add_co_ci_u32_e64 v29, null, s7, 0, s20
	s_clause 0x3
	global_load_b128 v[148:151], v[28:29], off offset:368
	global_load_b128 v[152:155], v[28:29], off offset:352
	global_load_b128 v[156:159], v[28:29], off offset:336
	global_load_b128 v[160:163], v[28:29], off offset:320
	global_wb scope:SCOPE_SE
	s_wait_storecnt 0x0
	s_wait_loadcnt_dscnt 0x0
	s_barrier_signal -1
	s_barrier_wait -1
	global_inv scope:SCOPE_SE
	v_mul_f64_e32 v[28:29], v[26:27], v[162:163]
	s_delay_alu instid0(VALU_DEP_1) | instskip(SKIP_1) | instid1(VALU_DEP_1)
	v_fma_f64 v[52:53], v[24:25], v[160:161], -v[28:29]
	v_mul_f64_e32 v[24:25], v[24:25], v[162:163]
	v_fma_f64 v[28:29], v[26:27], v[160:161], v[24:25]
	v_mul_f64_e32 v[24:25], v[22:23], v[158:159]
	v_add_f64_e64 v[26:27], v[90:91], -v[92:93]
	s_delay_alu instid0(VALU_DEP_2) | instskip(SKIP_2) | instid1(VALU_DEP_2)
	v_fma_f64 v[58:59], v[20:21], v[156:157], -v[24:25]
	v_mul_f64_e32 v[20:21], v[20:21], v[158:159]
	v_add_f64_e64 v[24:25], v[92:93], -v[90:91]
	v_fma_f64 v[34:35], v[22:23], v[156:157], v[20:21]
	v_mul_f64_e32 v[20:21], v[18:19], v[154:155]
	v_add_f64_e64 v[22:23], v[48:49], -v[46:47]
	s_delay_alu instid0(VALU_DEP_2) | instskip(SKIP_2) | instid1(VALU_DEP_2)
	v_fma_f64 v[62:63], v[16:17], v[152:153], -v[20:21]
	v_mul_f64_e32 v[16:17], v[16:17], v[154:155]
	v_add_f64_e64 v[20:21], v[86:87], -v[88:89]
	v_fma_f64 v[32:33], v[18:19], v[152:153], v[16:17]
	v_mul_f64_e32 v[16:17], v[14:15], v[150:151]
	v_add_f64_e64 v[18:19], v[44:45], -v[50:51]
	s_delay_alu instid0(VALU_DEP_4) | instskip(NEXT) | instid1(VALU_DEP_3)
	v_add_f64_e32 v[24:25], v[20:21], v[24:25]
	v_fma_f64 v[66:67], v[12:13], v[148:149], -v[16:17]
	v_mul_f64_e32 v[12:13], v[12:13], v[150:151]
	s_delay_alu instid0(VALU_DEP_1) | instskip(SKIP_2) | instid1(VALU_DEP_2)
	v_fma_f64 v[68:69], v[14:15], v[148:149], v[12:13]
	v_add_f64_e32 v[14:15], v[88:89], v[90:91]
	v_add_f64_e32 v[12:13], v[8:9], v[86:87]
	v_fma_f64 v[14:15], v[14:15], -0.5, v[8:9]
	s_delay_alu instid0(VALU_DEP_2) | instskip(NEXT) | instid1(VALU_DEP_2)
	v_add_f64_e32 v[12:13], v[12:13], v[88:89]
	v_fma_f64 v[16:17], v[18:19], s[2:3], v[14:15]
	v_fma_f64 v[14:15], v[18:19], s[16:17], v[14:15]
	s_delay_alu instid0(VALU_DEP_3) | instskip(NEXT) | instid1(VALU_DEP_3)
	v_add_f64_e32 v[12:13], v[12:13], v[90:91]
	v_fma_f64 v[16:17], v[22:23], s[10:11], v[16:17]
	s_delay_alu instid0(VALU_DEP_3) | instskip(NEXT) | instid1(VALU_DEP_3)
	v_fma_f64 v[14:15], v[22:23], s[14:15], v[14:15]
	v_add_f64_e32 v[12:13], v[12:13], v[92:93]
	s_delay_alu instid0(VALU_DEP_3) | instskip(NEXT) | instid1(VALU_DEP_3)
	v_fma_f64 v[20:21], v[24:25], s[8:9], v[16:17]
	v_fma_f64 v[16:17], v[24:25], s[8:9], v[14:15]
	v_add_f64_e32 v[14:15], v[86:87], v[92:93]
	v_add_f64_e64 v[24:25], v[88:89], -v[86:87]
	v_add_f64_e64 v[89:90], v[60:61], -v[64:65]
	s_delay_alu instid0(VALU_DEP_3) | instskip(NEXT) | instid1(VALU_DEP_3)
	v_fma_f64 v[14:15], v[14:15], -0.5, v[8:9]
	v_add_f64_e32 v[24:25], v[24:25], v[26:27]
	v_add_f64_e64 v[26:27], v[86:87], -v[92:93]
	v_add_f64_e64 v[85:86], v[44:45], -v[48:49]
	;; [unrolled: 1-line block ×3, first 2 shown]
	v_fma_f64 v[8:9], v[22:23], s[16:17], v[14:15]
	v_fma_f64 v[14:15], v[22:23], s[2:3], v[14:15]
	s_delay_alu instid0(VALU_DEP_3) | instskip(SKIP_1) | instid1(VALU_DEP_4)
	v_add_f64_e32 v[85:86], v[85:86], v[87:88]
	v_add_f64_e64 v[87:88], v[64:65], -v[60:61]
	v_fma_f64 v[8:9], v[18:19], s[10:11], v[8:9]
	s_delay_alu instid0(VALU_DEP_4) | instskip(SKIP_1) | instid1(VALU_DEP_3)
	v_fma_f64 v[14:15], v[18:19], s[14:15], v[14:15]
	v_add_f64_e32 v[18:19], v[48:49], v[46:47]
	v_fma_f64 v[8:9], v[24:25], s[8:9], v[8:9]
	s_delay_alu instid0(VALU_DEP_3) | instskip(NEXT) | instid1(VALU_DEP_3)
	v_fma_f64 v[24:25], v[24:25], s[8:9], v[14:15]
	v_fma_f64 v[18:19], v[18:19], -0.5, v[10:11]
	v_add_f64_e32 v[14:15], v[10:11], v[44:45]
	s_delay_alu instid0(VALU_DEP_2) | instskip(SKIP_1) | instid1(VALU_DEP_3)
	v_fma_f64 v[22:23], v[26:27], s[16:17], v[18:19]
	v_fma_f64 v[18:19], v[26:27], s[2:3], v[18:19]
	v_add_f64_e32 v[14:15], v[14:15], v[48:49]
	s_delay_alu instid0(VALU_DEP_3) | instskip(NEXT) | instid1(VALU_DEP_3)
	v_fma_f64 v[22:23], v[83:84], s[14:15], v[22:23]
	v_fma_f64 v[18:19], v[83:84], s[10:11], v[18:19]
	s_delay_alu instid0(VALU_DEP_3) | instskip(SKIP_1) | instid1(VALU_DEP_4)
	v_add_f64_e32 v[14:15], v[14:15], v[46:47]
	v_add_f64_e64 v[46:47], v[46:47], -v[50:51]
	v_fma_f64 v[22:23], v[85:86], s[8:9], v[22:23]
	s_delay_alu instid0(VALU_DEP_4) | instskip(SKIP_4) | instid1(VALU_DEP_4)
	v_fma_f64 v[18:19], v[85:86], s[8:9], v[18:19]
	v_add_f64_e32 v[85:86], v[44:45], v[50:51]
	v_add_f64_e64 v[44:45], v[48:49], -v[44:45]
	v_add_f64_e32 v[14:15], v[14:15], v[50:51]
	v_add_f64_e64 v[50:51], v[30:31], -v[42:43]
	v_fma_f64 v[85:86], v[85:86], -0.5, v[10:11]
	s_delay_alu instid0(VALU_DEP_4) | instskip(NEXT) | instid1(VALU_DEP_2)
	v_add_f64_e32 v[44:45], v[44:45], v[46:47]
	v_fma_f64 v[10:11], v[83:84], s[2:3], v[85:86]
	v_fma_f64 v[46:47], v[83:84], s[16:17], v[85:86]
	v_add_f64_e64 v[85:86], v[36:37], -v[38:39]
	v_add_f64_e64 v[83:84], v[54:55], -v[56:57]
	s_delay_alu instid0(VALU_DEP_4) | instskip(NEXT) | instid1(VALU_DEP_4)
	v_fma_f64 v[10:11], v[26:27], s[14:15], v[10:11]
	v_fma_f64 v[26:27], v[26:27], s[10:11], v[46:47]
	v_add_f64_e32 v[46:47], v[56:57], v[60:61]
	s_delay_alu instid0(VALU_DEP_4)
	v_add_f64_e32 v[83:84], v[83:84], v[87:88]
	v_add_f64_e64 v[87:88], v[56:57], -v[54:55]
	v_fma_f64 v[10:11], v[44:45], s[8:9], v[10:11]
	v_fma_f64 v[26:27], v[44:45], s[8:9], v[26:27]
	v_fma_f64 v[46:47], v[46:47], -0.5, v[4:5]
	v_add_f64_e32 v[44:45], v[4:5], v[54:55]
	v_add_f64_e32 v[87:88], v[87:88], v[89:90]
	s_delay_alu instid0(VALU_DEP_3) | instskip(SKIP_1) | instid1(VALU_DEP_4)
	v_fma_f64 v[48:49], v[50:51], s[2:3], v[46:47]
	v_fma_f64 v[46:47], v[50:51], s[16:17], v[46:47]
	v_add_f64_e32 v[44:45], v[44:45], v[56:57]
	v_add_f64_e64 v[56:57], v[56:57], -v[60:61]
	s_delay_alu instid0(VALU_DEP_4) | instskip(NEXT) | instid1(VALU_DEP_4)
	v_fma_f64 v[48:49], v[85:86], s[10:11], v[48:49]
	v_fma_f64 v[46:47], v[85:86], s[14:15], v[46:47]
	s_delay_alu instid0(VALU_DEP_4) | instskip(SKIP_1) | instid1(VALU_DEP_4)
	v_add_f64_e32 v[44:45], v[44:45], v[60:61]
	v_add_f64_e64 v[60:61], v[30:31], -v[36:37]
	v_fma_f64 v[48:49], v[83:84], s[8:9], v[48:49]
	s_delay_alu instid0(VALU_DEP_4) | instskip(SKIP_4) | instid1(VALU_DEP_4)
	v_fma_f64 v[83:84], v[83:84], s[8:9], v[46:47]
	v_add_f64_e32 v[46:47], v[54:55], v[64:65]
	v_add_f64_e32 v[44:45], v[44:45], v[64:65]
	v_add_f64_e64 v[54:55], v[54:55], -v[64:65]
	v_add_f64_e64 v[64:65], v[42:43], -v[38:39]
	v_fma_f64 v[46:47], v[46:47], -0.5, v[4:5]
	s_delay_alu instid0(VALU_DEP_2) | instskip(NEXT) | instid1(VALU_DEP_2)
	v_add_f64_e32 v[60:61], v[60:61], v[64:65]
	v_fma_f64 v[4:5], v[85:86], s[16:17], v[46:47]
	v_fma_f64 v[46:47], v[85:86], s[2:3], v[46:47]
	s_delay_alu instid0(VALU_DEP_2) | instskip(NEXT) | instid1(VALU_DEP_2)
	v_fma_f64 v[4:5], v[50:51], s[10:11], v[4:5]
	v_fma_f64 v[46:47], v[50:51], s[14:15], v[46:47]
	v_add_f64_e32 v[50:51], v[36:37], v[38:39]
	s_delay_alu instid0(VALU_DEP_3) | instskip(NEXT) | instid1(VALU_DEP_3)
	v_fma_f64 v[4:5], v[87:88], s[8:9], v[4:5]
	v_fma_f64 v[87:88], v[87:88], s[8:9], v[46:47]
	s_delay_alu instid0(VALU_DEP_3) | instskip(SKIP_1) | instid1(VALU_DEP_2)
	v_fma_f64 v[85:86], v[50:51], -0.5, v[6:7]
	v_add_f64_e32 v[46:47], v[6:7], v[30:31]
	v_fma_f64 v[50:51], v[54:55], s[16:17], v[85:86]
	v_fma_f64 v[64:65], v[54:55], s[2:3], v[85:86]
	s_delay_alu instid0(VALU_DEP_3) | instskip(NEXT) | instid1(VALU_DEP_3)
	v_add_f64_e32 v[46:47], v[46:47], v[36:37]
	v_fma_f64 v[50:51], v[56:57], s[14:15], v[50:51]
	s_delay_alu instid0(VALU_DEP_3) | instskip(NEXT) | instid1(VALU_DEP_3)
	v_fma_f64 v[64:65], v[56:57], s[10:11], v[64:65]
	v_add_f64_e32 v[46:47], v[46:47], v[38:39]
	s_delay_alu instid0(VALU_DEP_3) | instskip(NEXT) | instid1(VALU_DEP_3)
	v_fma_f64 v[50:51], v[60:61], s[8:9], v[50:51]
	v_fma_f64 v[85:86], v[60:61], s[8:9], v[64:65]
	v_add_f64_e32 v[60:61], v[30:31], v[42:43]
	v_add_f64_e64 v[30:31], v[36:37], -v[30:31]
	v_add_f64_e64 v[36:37], v[38:39], -v[42:43]
	;; [unrolled: 1-line block ×3, first 2 shown]
	v_add_f64_e32 v[46:47], v[46:47], v[42:43]
	v_add_f64_e64 v[64:65], v[62:63], -v[66:67]
	v_fma_f64 v[60:61], v[60:61], -0.5, v[6:7]
	v_add_f64_e32 v[30:31], v[30:31], v[36:37]
	s_delay_alu instid0(VALU_DEP_2) | instskip(SKIP_3) | instid1(VALU_DEP_4)
	v_fma_f64 v[6:7], v[56:57], s[2:3], v[60:61]
	v_fma_f64 v[36:37], v[56:57], s[16:17], v[60:61]
	v_add_f64_e64 v[56:57], v[34:35], -v[32:33]
	v_add_f64_e64 v[60:61], v[66:67], -v[62:63]
	v_fma_f64 v[6:7], v[54:55], s[14:15], v[6:7]
	s_delay_alu instid0(VALU_DEP_4) | instskip(SKIP_1) | instid1(VALU_DEP_3)
	v_fma_f64 v[36:37], v[54:55], s[10:11], v[36:37]
	v_add_f64_e64 v[54:55], v[52:53], -v[58:59]
	v_fma_f64 v[6:7], v[30:31], s[8:9], v[6:7]
	s_delay_alu instid0(VALU_DEP_3) | instskip(SKIP_1) | instid1(VALU_DEP_4)
	v_fma_f64 v[89:90], v[30:31], s[8:9], v[36:37]
	v_add_f64_e32 v[30:31], v[0:1], v[52:53]
	v_add_f64_e32 v[60:61], v[54:55], v[60:61]
	s_delay_alu instid0(VALU_DEP_2) | instskip(NEXT) | instid1(VALU_DEP_1)
	v_add_f64_e32 v[30:31], v[30:31], v[58:59]
	v_add_f64_e32 v[30:31], v[30:31], v[62:63]
	s_delay_alu instid0(VALU_DEP_1) | instskip(SKIP_1) | instid1(VALU_DEP_1)
	v_add_f64_e32 v[36:37], v[30:31], v[66:67]
	v_add_f64_e32 v[30:31], v[58:59], v[62:63]
	v_fma_f64 v[30:31], v[30:31], -0.5, v[0:1]
	s_delay_alu instid0(VALU_DEP_1) | instskip(SKIP_1) | instid1(VALU_DEP_2)
	v_fma_f64 v[42:43], v[38:39], s[2:3], v[30:31]
	v_fma_f64 v[30:31], v[38:39], s[16:17], v[30:31]
	;; [unrolled: 1-line block ×3, first 2 shown]
	s_delay_alu instid0(VALU_DEP_2) | instskip(NEXT) | instid1(VALU_DEP_2)
	v_fma_f64 v[30:31], v[56:57], s[14:15], v[30:31]
	v_fma_f64 v[54:55], v[60:61], s[8:9], v[42:43]
	s_delay_alu instid0(VALU_DEP_2)
	v_fma_f64 v[60:61], v[60:61], s[8:9], v[30:31]
	v_add_f64_e32 v[30:31], v[52:53], v[66:67]
	v_add_f64_e64 v[42:43], v[58:59], -v[52:53]
	v_add_f64_e64 v[52:53], v[52:53], -v[66:67]
	v_add_f64_e64 v[58:59], v[58:59], -v[62:63]
	v_add_f64_e64 v[62:63], v[28:29], -v[34:35]
	v_fma_f64 v[30:31], v[30:31], -0.5, v[0:1]
	v_add_f64_e32 v[42:43], v[42:43], v[64:65]
	v_add_f64_e64 v[64:65], v[68:69], -v[32:33]
	s_delay_alu instid0(VALU_DEP_3) | instskip(SKIP_1) | instid1(VALU_DEP_3)
	v_fma_f64 v[0:1], v[56:57], s[16:17], v[30:31]
	v_fma_f64 v[30:31], v[56:57], s[2:3], v[30:31]
	v_add_f64_e32 v[62:63], v[62:63], v[64:65]
	s_delay_alu instid0(VALU_DEP_3) | instskip(NEXT) | instid1(VALU_DEP_3)
	v_fma_f64 v[0:1], v[38:39], s[10:11], v[0:1]
	v_fma_f64 v[30:31], v[38:39], s[14:15], v[30:31]
	v_add_f64_e32 v[38:39], v[2:3], v[28:29]
	s_delay_alu instid0(VALU_DEP_3) | instskip(NEXT) | instid1(VALU_DEP_3)
	v_fma_f64 v[0:1], v[42:43], s[8:9], v[0:1]
	v_fma_f64 v[30:31], v[42:43], s[8:9], v[30:31]
	v_add_f64_e32 v[42:43], v[34:35], v[32:33]
	s_delay_alu instid0(VALU_DEP_4) | instskip(NEXT) | instid1(VALU_DEP_2)
	v_add_f64_e32 v[38:39], v[38:39], v[34:35]
	v_fma_f64 v[42:43], v[42:43], -0.5, v[2:3]
	s_delay_alu instid0(VALU_DEP_2) | instskip(SKIP_1) | instid1(VALU_DEP_3)
	v_add_f64_e32 v[38:39], v[38:39], v[32:33]
	v_add_f64_e64 v[32:33], v[32:33], -v[68:69]
	v_fma_f64 v[56:57], v[52:53], s[16:17], v[42:43]
	v_fma_f64 v[42:43], v[52:53], s[2:3], v[42:43]
	s_delay_alu instid0(VALU_DEP_4) | instskip(NEXT) | instid1(VALU_DEP_3)
	v_add_f64_e32 v[38:39], v[38:39], v[68:69]
	v_fma_f64 v[56:57], v[58:59], s[14:15], v[56:57]
	s_delay_alu instid0(VALU_DEP_3) | instskip(NEXT) | instid1(VALU_DEP_2)
	v_fma_f64 v[42:43], v[58:59], s[10:11], v[42:43]
	v_fma_f64 v[56:57], v[62:63], s[8:9], v[56:57]
	s_delay_alu instid0(VALU_DEP_2) | instskip(SKIP_2) | instid1(VALU_DEP_2)
	v_fma_f64 v[62:63], v[62:63], s[8:9], v[42:43]
	v_add_f64_e32 v[42:43], v[28:29], v[68:69]
	v_add_f64_e64 v[28:29], v[34:35], -v[28:29]
	v_fma_f64 v[42:43], v[42:43], -0.5, v[2:3]
	s_delay_alu instid0(VALU_DEP_2) | instskip(NEXT) | instid1(VALU_DEP_2)
	v_add_f64_e32 v[28:29], v[28:29], v[32:33]
	v_fma_f64 v[2:3], v[58:59], s[2:3], v[42:43]
	v_fma_f64 v[32:33], v[58:59], s[16:17], v[42:43]
	s_delay_alu instid0(VALU_DEP_2) | instskip(NEXT) | instid1(VALU_DEP_2)
	v_fma_f64 v[2:3], v[52:53], s[14:15], v[2:3]
	v_fma_f64 v[32:33], v[52:53], s[10:11], v[32:33]
	s_delay_alu instid0(VALU_DEP_2) | instskip(NEXT) | instid1(VALU_DEP_2)
	v_fma_f64 v[2:3], v[28:29], s[8:9], v[2:3]
	v_fma_f64 v[32:33], v[28:29], s[8:9], v[32:33]
	v_and_b32_e32 v28, 0xffff, v41
	s_delay_alu instid0(VALU_DEP_1) | instskip(NEXT) | instid1(VALU_DEP_1)
	v_mul_u32_u24_e32 v28, 0x7d, v28
	v_add_lshl_u32 v119, v28, v70, 4
	ds_store_b128 v119, v[12:15]
	ds_store_b128 v119, v[20:23] offset:400
	ds_store_b128 v119, v[8:11] offset:800
	;; [unrolled: 1-line block ×4, first 2 shown]
	v_mad_u16 v8, 0x7d, v71, v72
	s_delay_alu instid0(VALU_DEP_1) | instskip(NEXT) | instid1(VALU_DEP_1)
	v_and_b32_e32 v8, 0xffff, v8
	v_lshlrev_b32_e32 v118, 4, v8
	ds_store_b128 v118, v[44:47]
	ds_store_b128 v118, v[48:51] offset:400
	ds_store_b128 v118, v[4:7] offset:800
	ds_store_b128 v118, v[87:90] offset:1200
	ds_store_b128 v118, v[83:86] offset:1600
	v_mad_u16 v4, 0x7d, v73, v82
	s_delay_alu instid0(VALU_DEP_1) | instskip(NEXT) | instid1(VALU_DEP_1)
	v_and_b32_e32 v4, 0xffff, v4
	v_lshlrev_b32_e32 v117, 4, v4
	ds_store_b128 v117, v[36:39]
	ds_store_b128 v117, v[54:57] offset:400
	ds_store_b128 v117, v[0:3] offset:800
	;; [unrolled: 1-line block ×4, first 2 shown]
	v_add_co_u32 v36, s20, 0xffffff83, v116
	s_wait_alu 0xf1ff
	v_add_co_ci_u32_e64 v37, null, 0, -1, s20
	global_wb scope:SCOPE_SE
	s_wait_dscnt 0x0
	s_wait_alu 0xfffd
	v_cndmask_b32_e32 v36, v36, v116, vcc_lo
	s_barrier_signal -1
	v_cndmask_b32_e64 v37, v37, 0, vcc_lo
	s_barrier_wait -1
	global_inv scope:SCOPE_SE
	ds_load_b128 v[16:19], v40
	ds_load_b128 v[41:44], v40 offset:18000
	ds_load_b128 v[47:50], v40 offset:36000
	;; [unrolled: 1-line block ×14, first 2 shown]
	v_mul_u32_u24_e32 v39, 0x625, v80
	v_lshlrev_b64_e32 v[37:38], 5, v[36:37]
	s_delay_alu instid0(VALU_DEP_2) | instskip(NEXT) | instid1(VALU_DEP_2)
	v_lshrrev_b32_e32 v39, 16, v39
	v_add_co_u32 v37, vcc_lo, s6, v37
	s_wait_alu 0xfffd
	s_delay_alu instid0(VALU_DEP_3)
	v_add_co_ci_u32_e32 v38, vcc_lo, s7, v38, vcc_lo
	s_clause 0x1
	global_load_b128 v[124:127], v[37:38], off offset:1936
	global_load_b128 v[136:139], v[37:38], off offset:1920
	v_cmp_lt_u16_e32 vcc_lo, 0x7c, v77
	s_wait_loadcnt_dscnt 0xd
	v_mul_f64_e32 v[37:38], v[43:44], v[138:139]
	s_delay_alu instid0(VALU_DEP_1) | instskip(SKIP_1) | instid1(VALU_DEP_1)
	v_fma_f64 v[37:38], v[41:42], v[136:137], -v[37:38]
	v_mul_f64_e32 v[41:42], v[41:42], v[138:139]
	v_fma_f64 v[41:42], v[43:44], v[136:137], v[41:42]
	s_wait_dscnt 0xc
	v_mul_f64_e32 v[43:44], v[49:50], v[126:127]
	s_delay_alu instid0(VALU_DEP_1) | instskip(SKIP_2) | instid1(VALU_DEP_1)
	v_fma_f64 v[45:46], v[47:48], v[124:125], -v[43:44]
	v_mul_f64_e32 v[43:44], v[47:48], v[126:127]
	v_sub_nc_u16 v47, v76, v39
	v_lshrrev_b16 v47, 1, v47
	s_delay_alu instid0(VALU_DEP_1) | instskip(NEXT) | instid1(VALU_DEP_1)
	v_add_nc_u16 v39, v47, v39
	v_lshrrev_b16 v47, 6, v39
	s_delay_alu instid0(VALU_DEP_1) | instskip(NEXT) | instid1(VALU_DEP_1)
	v_mul_lo_u16 v39, 0x7d, v47
	v_sub_nc_u16 v48, v76, v39
	s_delay_alu instid0(VALU_DEP_1) | instskip(NEXT) | instid1(VALU_DEP_1)
	v_lshlrev_b16 v39, 5, v48
	v_and_b32_e32 v39, 0xffff, v39
	v_fma_f64 v[43:44], v[49:50], v[124:125], v[43:44]
	s_delay_alu instid0(VALU_DEP_2)
	v_add_co_u32 v49, s20, s6, v39
	s_wait_alu 0xf1ff
	v_add_co_ci_u32_e64 v50, null, s7, 0, s20
	s_clause 0x1
	global_load_b128 v[164:167], v[49:50], off offset:1936
	global_load_b128 v[168:171], v[49:50], off offset:1920
	v_mul_u32_u24_e32 v39, 0x625, v81
	s_delay_alu instid0(VALU_DEP_1) | instskip(SKIP_2) | instid1(VALU_DEP_1)
	v_lshrrev_b32_e32 v39, 16, v39
	s_wait_loadcnt_dscnt 0xa
	v_mul_f64_e32 v[49:50], v[53:54], v[170:171]
	v_fma_f64 v[67:68], v[51:52], v[168:169], -v[49:50]
	v_mul_f64_e32 v[49:50], v[51:52], v[170:171]
	s_delay_alu instid0(VALU_DEP_1) | instskip(SKIP_2) | instid1(VALU_DEP_1)
	v_fma_f64 v[51:52], v[53:54], v[168:169], v[49:50]
	s_wait_dscnt 0x9
	v_mul_f64_e32 v[49:50], v[57:58], v[166:167]
	v_fma_f64 v[53:54], v[55:56], v[164:165], -v[49:50]
	v_mul_f64_e32 v[49:50], v[55:56], v[166:167]
	s_delay_alu instid0(VALU_DEP_1) | instskip(SKIP_1) | instid1(VALU_DEP_1)
	v_fma_f64 v[55:56], v[57:58], v[164:165], v[49:50]
	v_sub_nc_u16 v49, v78, v39
	v_lshrrev_b16 v49, 1, v49
	s_delay_alu instid0(VALU_DEP_1) | instskip(NEXT) | instid1(VALU_DEP_1)
	v_add_nc_u16 v39, v49, v39
	v_lshrrev_b16 v49, 6, v39
	s_delay_alu instid0(VALU_DEP_1) | instskip(NEXT) | instid1(VALU_DEP_1)
	v_mul_lo_u16 v39, 0x7d, v49
	v_sub_nc_u16 v50, v78, v39
	s_delay_alu instid0(VALU_DEP_1) | instskip(NEXT) | instid1(VALU_DEP_1)
	v_lshlrev_b16 v39, 5, v50
	v_and_b32_e32 v39, 0xffff, v39
	s_delay_alu instid0(VALU_DEP_1)
	v_add_co_u32 v57, s20, s6, v39
	s_wait_alu 0xf1ff
	v_add_co_ci_u32_e64 v58, null, s7, 0, s20
	s_clause 0x1
	global_load_b128 v[172:175], v[57:58], off offset:1936
	global_load_b128 v[176:179], v[57:58], off offset:1920
	v_and_b32_e32 v39, 0xffff, v74
	s_wait_loadcnt_dscnt 0x7
	v_mul_f64_e32 v[57:58], v[61:62], v[178:179]
	s_delay_alu instid0(VALU_DEP_1) | instskip(SKIP_1) | instid1(VALU_DEP_1)
	v_fma_f64 v[57:58], v[59:60], v[176:177], -v[57:58]
	v_mul_f64_e32 v[59:60], v[59:60], v[178:179]
	v_fma_f64 v[59:60], v[61:62], v[176:177], v[59:60]
	s_wait_dscnt 0x6
	v_mul_f64_e32 v[61:62], v[65:66], v[174:175]
	s_delay_alu instid0(VALU_DEP_1) | instskip(SKIP_1) | instid1(VALU_DEP_1)
	v_fma_f64 v[61:62], v[63:64], v[172:173], -v[61:62]
	v_mul_f64_e32 v[63:64], v[63:64], v[174:175]
	v_fma_f64 v[63:64], v[65:66], v[172:173], v[63:64]
	v_mul_u32_u24_e32 v65, 0x625, v39
	s_delay_alu instid0(VALU_DEP_1) | instskip(NEXT) | instid1(VALU_DEP_1)
	v_lshrrev_b32_e32 v65, 16, v65
	v_sub_nc_u16 v66, v74, v65
	s_delay_alu instid0(VALU_DEP_1) | instskip(NEXT) | instid1(VALU_DEP_1)
	v_lshrrev_b16 v66, 1, v66
	v_add_nc_u16 v65, v66, v65
	s_delay_alu instid0(VALU_DEP_1) | instskip(NEXT) | instid1(VALU_DEP_1)
	v_lshrrev_b16 v73, 6, v65
	v_mul_lo_u16 v65, 0x7d, v73
	s_delay_alu instid0(VALU_DEP_1) | instskip(NEXT) | instid1(VALU_DEP_1)
	v_sub_nc_u16 v90, v74, v65
	v_lshlrev_b16 v65, 5, v90
	s_delay_alu instid0(VALU_DEP_1) | instskip(NEXT) | instid1(VALU_DEP_1)
	v_and_b32_e32 v65, 0xffff, v65
	v_add_co_u32 v65, s20, s6, v65
	s_wait_alu 0xf1ff
	v_add_co_ci_u32_e64 v66, null, s7, 0, s20
	s_clause 0x1
	global_load_b128 v[184:187], v[65:66], off offset:1936
	global_load_b128 v[188:191], v[65:66], off offset:1920
	s_wait_loadcnt_dscnt 0x103
	v_mul_f64_e32 v[69:70], v[30:31], v[186:187]
	s_wait_loadcnt 0x0
	v_mul_f64_e32 v[65:66], v[34:35], v[190:191]
	s_delay_alu instid0(VALU_DEP_2) | instskip(SKIP_1) | instid1(VALU_DEP_3)
	v_fma_f64 v[69:70], v[28:29], v[184:185], -v[69:70]
	v_mul_f64_e32 v[28:29], v[28:29], v[186:187]
	v_fma_f64 v[65:66], v[32:33], v[188:189], -v[65:66]
	v_mul_f64_e32 v[32:33], v[32:33], v[190:191]
	s_delay_alu instid0(VALU_DEP_3) | instskip(SKIP_1) | instid1(VALU_DEP_3)
	v_fma_f64 v[71:72], v[30:31], v[184:185], v[28:29]
	v_and_b32_e32 v28, 0xffff, v75
	v_fma_f64 v[33:34], v[34:35], v[188:189], v[32:33]
	v_add_f64_e32 v[31:32], v[67:68], v[53:54]
	s_delay_alu instid0(VALU_DEP_3) | instskip(NEXT) | instid1(VALU_DEP_1)
	v_mul_u32_u24_e32 v29, 0x625, v28
	v_lshrrev_b32_e32 v29, 16, v29
	s_delay_alu instid0(VALU_DEP_1) | instskip(NEXT) | instid1(VALU_DEP_1)
	v_sub_nc_u16 v30, v75, v29
	v_lshrrev_b16 v30, 1, v30
	s_delay_alu instid0(VALU_DEP_1) | instskip(NEXT) | instid1(VALU_DEP_1)
	v_add_nc_u16 v29, v30, v29
	v_lshrrev_b16 v35, 6, v29
	s_delay_alu instid0(VALU_DEP_1) | instskip(NEXT) | instid1(VALU_DEP_1)
	v_mul_lo_u16 v29, 0x7d, v35
	v_sub_nc_u16 v91, v75, v29
	v_fma_f64 v[31:32], v[31:32], -0.5, v[12:13]
	s_delay_alu instid0(VALU_DEP_2) | instskip(NEXT) | instid1(VALU_DEP_1)
	v_lshlrev_b16 v29, 5, v91
	v_and_b32_e32 v29, 0xffff, v29
	s_delay_alu instid0(VALU_DEP_1)
	v_add_co_u32 v29, s20, s6, v29
	s_wait_alu 0xf1ff
	v_add_co_ci_u32_e64 v30, null, s7, 0, s20
	s_clause 0x1
	global_load_b128 v[192:195], v[29:30], off offset:1936
	global_load_b128 v[204:207], v[29:30], off offset:1920
	s_mov_b32 s20, 0xe8584caa
	s_mov_b32 s21, 0x3febb67a
	s_wait_alu 0xfffe
	s_mov_b32 s22, s20
	global_wb scope:SCOPE_SE
	s_wait_loadcnt_dscnt 0x0
	s_barrier_signal -1
	s_barrier_wait -1
	global_inv scope:SCOPE_SE
	v_mul_f64_e32 v[29:30], v[26:27], v[206:207]
	s_delay_alu instid0(VALU_DEP_1) | instskip(SKIP_2) | instid1(VALU_DEP_2)
	v_fma_f64 v[82:83], v[24:25], v[204:205], -v[29:30]
	v_mul_f64_e32 v[24:25], v[24:25], v[206:207]
	v_add_f64_e64 v[29:30], v[37:38], -v[45:46]
	v_fma_f64 v[84:85], v[26:27], v[204:205], v[24:25]
	v_mul_f64_e32 v[24:25], v[22:23], v[194:195]
	v_add_f64_e32 v[26:27], v[41:42], v[43:44]
	s_delay_alu instid0(VALU_DEP_2) | instskip(SKIP_2) | instid1(VALU_DEP_4)
	v_fma_f64 v[86:87], v[20:21], v[192:193], -v[24:25]
	v_mul_f64_e32 v[20:21], v[20:21], v[194:195]
	v_add_f64_e64 v[24:25], v[41:42], -v[43:44]
	v_fma_f64 v[26:27], v[26:27], -0.5, v[18:19]
	s_delay_alu instid0(VALU_DEP_3) | instskip(SKIP_3) | instid1(VALU_DEP_3)
	v_fma_f64 v[88:89], v[22:23], v[192:193], v[20:21]
	v_add_f64_e32 v[22:23], v[37:38], v[45:46]
	v_add_f64_e32 v[20:21], v[16:17], v[37:38]
	v_add_f64_e64 v[37:38], v[51:52], -v[55:56]
	v_fma_f64 v[22:23], v[22:23], -0.5, v[16:17]
	s_delay_alu instid0(VALU_DEP_3) | instskip(SKIP_1) | instid1(VALU_DEP_3)
	v_add_f64_e32 v[20:21], v[20:21], v[45:46]
	v_add_f64_e64 v[45:46], v[59:60], -v[63:64]
	v_fma_f64 v[16:17], v[24:25], s[20:21], v[22:23]
	v_fma_f64 v[24:25], v[24:25], s[22:23], v[22:23]
	v_add_f64_e32 v[22:23], v[18:19], v[41:42]
	v_fma_f64 v[18:19], v[29:30], s[22:23], v[26:27]
	v_fma_f64 v[26:27], v[29:30], s[20:21], v[26:27]
	v_add_f64_e32 v[29:30], v[12:13], v[67:68]
	;; [unrolled: 3-line block ×3, first 2 shown]
	v_add_f64_e32 v[31:32], v[14:15], v[51:52]
	v_add_f64_e32 v[22:23], v[22:23], v[43:44]
	v_add_f64_e64 v[43:44], v[67:68], -v[53:54]
	v_add_f64_e32 v[29:30], v[29:30], v[53:54]
	v_fma_f64 v[37:38], v[37:38], -0.5, v[14:15]
	v_add_f64_e32 v[31:32], v[31:32], v[55:56]
	s_delay_alu instid0(VALU_DEP_2) | instskip(SKIP_2) | instid1(VALU_DEP_1)
	v_fma_f64 v[14:15], v[43:44], s[22:23], v[37:38]
	v_fma_f64 v[43:44], v[43:44], s[20:21], v[37:38]
	v_add_f64_e32 v[37:38], v[8:9], v[57:58]
	v_add_f64_e32 v[51:52], v[37:38], v[61:62]
	;; [unrolled: 1-line block ×3, first 2 shown]
	s_delay_alu instid0(VALU_DEP_1) | instskip(NEXT) | instid1(VALU_DEP_1)
	v_fma_f64 v[37:38], v[37:38], -0.5, v[8:9]
	v_fma_f64 v[8:9], v[45:46], s[20:21], v[37:38]
	v_fma_f64 v[55:56], v[45:46], s[22:23], v[37:38]
	v_add_f64_e32 v[37:38], v[10:11], v[59:60]
	v_add_f64_e64 v[45:46], v[57:58], -v[61:62]
	s_delay_alu instid0(VALU_DEP_2) | instskip(SKIP_1) | instid1(VALU_DEP_1)
	v_add_f64_e32 v[53:54], v[37:38], v[63:64]
	v_add_f64_e32 v[37:38], v[59:60], v[63:64]
	v_fma_f64 v[37:38], v[37:38], -0.5, v[10:11]
	s_delay_alu instid0(VALU_DEP_1) | instskip(SKIP_3) | instid1(VALU_DEP_2)
	v_fma_f64 v[10:11], v[45:46], s[22:23], v[37:38]
	v_fma_f64 v[57:58], v[45:46], s[20:21], v[37:38]
	v_add_f64_e32 v[37:38], v[4:5], v[65:66]
	v_add_f64_e64 v[45:46], v[33:34], -v[71:72]
	v_add_f64_e32 v[59:60], v[37:38], v[69:70]
	v_add_f64_e32 v[37:38], v[65:66], v[69:70]
	s_delay_alu instid0(VALU_DEP_1) | instskip(NEXT) | instid1(VALU_DEP_1)
	v_fma_f64 v[37:38], v[37:38], -0.5, v[4:5]
	v_fma_f64 v[4:5], v[45:46], s[20:21], v[37:38]
	v_fma_f64 v[63:64], v[45:46], s[22:23], v[37:38]
	v_add_f64_e32 v[37:38], v[6:7], v[33:34]
	v_add_f64_e32 v[33:34], v[33:34], v[71:72]
	s_delay_alu instid0(VALU_DEP_2) | instskip(NEXT) | instid1(VALU_DEP_2)
	v_add_f64_e32 v[61:62], v[37:38], v[71:72]
	v_fma_f64 v[33:34], v[33:34], -0.5, v[6:7]
	v_add_f64_e64 v[37:38], v[65:66], -v[69:70]
	s_delay_alu instid0(VALU_DEP_1) | instskip(SKIP_3) | instid1(VALU_DEP_2)
	v_fma_f64 v[6:7], v[37:38], s[22:23], v[33:34]
	v_fma_f64 v[65:66], v[37:38], s[20:21], v[33:34]
	v_add_f64_e32 v[33:34], v[0:1], v[82:83]
	v_add_f64_e64 v[37:38], v[84:85], -v[88:89]
	v_add_f64_e32 v[67:68], v[33:34], v[86:87]
	v_add_f64_e32 v[33:34], v[82:83], v[86:87]
	s_delay_alu instid0(VALU_DEP_1) | instskip(NEXT) | instid1(VALU_DEP_1)
	v_fma_f64 v[33:34], v[33:34], -0.5, v[0:1]
	v_fma_f64 v[0:1], v[37:38], s[20:21], v[33:34]
	v_fma_f64 v[80:81], v[37:38], s[22:23], v[33:34]
	v_add_f64_e32 v[33:34], v[2:3], v[84:85]
	v_add_f64_e64 v[37:38], v[82:83], -v[86:87]
	s_delay_alu instid0(VALU_DEP_2) | instskip(SKIP_1) | instid1(VALU_DEP_1)
	v_add_f64_e32 v[69:70], v[33:34], v[88:89]
	v_add_f64_e32 v[33:34], v[84:85], v[88:89]
	v_fma_f64 v[33:34], v[33:34], -0.5, v[2:3]
	s_delay_alu instid0(VALU_DEP_1) | instskip(SKIP_4) | instid1(VALU_DEP_2)
	v_fma_f64 v[2:3], v[37:38], s[22:23], v[33:34]
	v_fma_f64 v[82:83], v[37:38], s[20:21], v[33:34]
	s_wait_alu 0xfffd
	v_cndmask_b32_e64 v33, 0, 0x177, vcc_lo
	v_cmp_gt_u16_e32 vcc_lo, 0x96, v77
	v_add_lshl_u32 v33, v36, v33, 4
	scratch_store_b32 off, v33, off offset:532 ; 4-byte Folded Spill
	ds_store_b128 v33, v[20:23]
	ds_store_b128 v33, v[16:19] offset:2000
	ds_store_b128 v33, v[24:27] offset:4000
	v_mad_u16 v16, 0x177, v47, v48
	s_delay_alu instid0(VALU_DEP_1) | instskip(NEXT) | instid1(VALU_DEP_1)
	v_and_b32_e32 v16, 0xffff, v16
	v_lshlrev_b32_e32 v16, 4, v16
	scratch_store_b32 off, v16, off offset:528 ; 4-byte Folded Spill
	ds_store_b128 v16, v[29:32]
	ds_store_b128 v16, v[12:15] offset:2000
	ds_store_b128 v16, v[41:44] offset:4000
	v_mad_u16 v12, 0x177, v49, v50
	v_lshlrev_b32_e32 v16, 5, v116
	s_delay_alu instid0(VALU_DEP_2) | instskip(NEXT) | instid1(VALU_DEP_1)
	v_and_b32_e32 v12, 0xffff, v12
	v_lshlrev_b32_e32 v12, 4, v12
	scratch_store_b32 off, v12, off offset:524 ; 4-byte Folded Spill
	ds_store_b128 v12, v[51:54]
	ds_store_b128 v12, v[8:11] offset:2000
	ds_store_b128 v12, v[55:58] offset:4000
	v_mad_u16 v8, 0x177, v73, v90
	s_delay_alu instid0(VALU_DEP_1) | instskip(NEXT) | instid1(VALU_DEP_1)
	v_and_b32_e32 v8, 0xffff, v8
	v_lshlrev_b32_e32 v8, 4, v8
	scratch_store_b32 off, v8, off offset:520 ; 4-byte Folded Spill
	ds_store_b128 v8, v[59:62]
	ds_store_b128 v8, v[4:7] offset:2000
	ds_store_b128 v8, v[63:66] offset:4000
	v_mad_u16 v4, 0x177, v35, v91
	s_delay_alu instid0(VALU_DEP_1) | instskip(NEXT) | instid1(VALU_DEP_1)
	v_and_b32_e32 v4, 0xffff, v4
	v_lshlrev_b32_e32 v4, 4, v4
	scratch_store_b32 off, v4, off offset:516 ; 4-byte Folded Spill
	ds_store_b128 v4, v[67:70]
	ds_store_b128 v4, v[0:3] offset:2000
	ds_store_b128 v4, v[80:83] offset:4000
	global_wb scope:SCOPE_SE
	s_wait_storecnt_dscnt 0x0
	s_barrier_signal -1
	s_barrier_wait -1
	global_inv scope:SCOPE_SE
	ds_load_b128 v[17:20], v40
	ds_load_b128 v[21:24], v40 offset:18000
	ds_load_b128 v[29:32], v40 offset:36000
	;; [unrolled: 1-line block ×14, first 2 shown]
	scratch_store_b32 off, v116, off offset:324 ; 4-byte Folded Spill
	s_clause 0x1
	global_load_b128 v[196:199], v16, s[6:7] offset:5936
	global_load_b128 v[200:203], v16, s[6:7] offset:5920
	s_wait_loadcnt_dscnt 0xd
	v_mul_f64_e32 v[25:26], v[23:24], v[202:203]
	s_delay_alu instid0(VALU_DEP_1) | instskip(SKIP_1) | instid1(VALU_DEP_1)
	v_fma_f64 v[37:38], v[21:22], v[200:201], -v[25:26]
	v_mul_f64_e32 v[21:22], v[21:22], v[202:203]
	v_fma_f64 v[69:70], v[23:24], v[200:201], v[21:22]
	s_wait_dscnt 0xc
	v_mul_f64_e32 v[21:22], v[31:32], v[198:199]
	s_delay_alu instid0(VALU_DEP_1) | instskip(SKIP_1) | instid1(VALU_DEP_2)
	v_fma_f64 v[71:72], v[29:30], v[196:197], -v[21:22]
	v_mul_f64_e32 v[21:22], v[29:30], v[198:199]
	v_add_f64_e32 v[23:24], v[37:38], v[71:72]
	s_delay_alu instid0(VALU_DEP_2) | instskip(SKIP_1) | instid1(VALU_DEP_1)
	v_fma_f64 v[29:30], v[31:32], v[196:197], v[21:22]
	v_add_co_u32 v21, s24, 0xffffff6a, v116
	v_add_co_ci_u32_e64 v22, null, 0, -1, s24
	s_wait_alu 0xfffd
	s_delay_alu instid0(VALU_DEP_1) | instskip(NEXT) | instid1(VALU_DEP_1)
	v_dual_cndmask_b32 v80, v22, v79 :: v_dual_cndmask_b32 v79, v21, v76
	v_lshlrev_b64_e32 v[21:22], 5, v[79:80]
	s_delay_alu instid0(VALU_DEP_1) | instskip(SKIP_1) | instid1(VALU_DEP_2)
	v_add_co_u32 v21, vcc_lo, s6, v21
	s_wait_alu 0xfffd
	v_add_co_ci_u32_e32 v22, vcc_lo, s7, v22, vcc_lo
	s_clause 0x3
	global_load_b128 v[208:211], v[21:22], off offset:5936
	global_load_b128 v[212:215], v[21:22], off offset:5920
	global_load_b128 v[216:219], v16, s[6:7] offset:8336
	global_load_b128 v[220:223], v16, s[6:7] offset:8320
	v_cmp_lt_u16_e32 vcc_lo, 0x95, v77
	v_fma_f64 v[23:24], v[23:24], -0.5, v[17:18]
	v_add_f64_e64 v[25:26], v[69:70], -v[29:30]
	s_wait_loadcnt_dscnt 0x20a
	v_mul_f64_e32 v[21:22], v[35:36], v[214:215]
	s_delay_alu instid0(VALU_DEP_1) | instskip(SKIP_1) | instid1(VALU_DEP_1)
	v_fma_f64 v[80:81], v[33:34], v[212:213], -v[21:22]
	v_mul_f64_e32 v[21:22], v[33:34], v[214:215]
	v_fma_f64 v[35:36], v[35:36], v[212:213], v[21:22]
	s_wait_dscnt 0x9
	v_mul_f64_e32 v[21:22], v[43:44], v[210:211]
	s_delay_alu instid0(VALU_DEP_1) | instskip(SKIP_1) | instid1(VALU_DEP_2)
	v_fma_f64 v[82:83], v[41:42], v[208:209], -v[21:22]
	v_mul_f64_e32 v[21:22], v[41:42], v[210:211]
	v_add_f64_e32 v[31:32], v[80:81], v[82:83]
	s_delay_alu instid0(VALU_DEP_2) | instskip(SKIP_2) | instid1(VALU_DEP_3)
	v_fma_f64 v[41:42], v[43:44], v[208:209], v[21:22]
	s_wait_loadcnt_dscnt 0x7
	v_mul_f64_e32 v[21:22], v[47:48], v[222:223]
	v_fma_f64 v[31:32], v[31:32], -0.5, v[12:13]
	s_delay_alu instid0(VALU_DEP_3) | instskip(NEXT) | instid1(VALU_DEP_3)
	v_add_f64_e64 v[33:34], v[35:36], -v[41:42]
	v_fma_f64 v[89:90], v[45:46], v[220:221], -v[21:22]
	v_mul_f64_e32 v[21:22], v[45:46], v[222:223]
	s_delay_alu instid0(VALU_DEP_1) | instskip(SKIP_2) | instid1(VALU_DEP_1)
	v_fma_f64 v[47:48], v[47:48], v[220:221], v[21:22]
	s_wait_dscnt 0x6
	v_mul_f64_e32 v[21:22], v[51:52], v[218:219]
	v_fma_f64 v[91:92], v[49:50], v[216:217], -v[21:22]
	v_mul_f64_e32 v[21:22], v[49:50], v[218:219]
	s_delay_alu instid0(VALU_DEP_1) | instskip(SKIP_1) | instid1(VALU_DEP_1)
	v_fma_f64 v[49:50], v[51:52], v[216:217], v[21:22]
	v_mul_u32_u24_e32 v21, 0x5d87, v39
	v_lshrrev_b32_e32 v21, 16, v21
	s_delay_alu instid0(VALU_DEP_1) | instskip(NEXT) | instid1(VALU_DEP_1)
	v_sub_nc_u16 v22, v74, v21
	v_lshrrev_b16 v22, 1, v22
	s_delay_alu instid0(VALU_DEP_1) | instskip(NEXT) | instid1(VALU_DEP_1)
	v_add_nc_u16 v21, v22, v21
	v_lshrrev_b16 v39, 8, v21
	s_delay_alu instid0(VALU_DEP_1) | instskip(NEXT) | instid1(VALU_DEP_1)
	v_mul_lo_u16 v21, 0x177, v39
	v_sub_nc_u16 v73, v74, v21
	v_add_f64_e64 v[43:44], v[47:48], -v[49:50]
	s_delay_alu instid0(VALU_DEP_2) | instskip(NEXT) | instid1(VALU_DEP_1)
	v_lshlrev_b16 v21, 5, v73
	v_and_b32_e32 v21, 0xffff, v21
	s_delay_alu instid0(VALU_DEP_1)
	v_add_co_u32 v21, s24, s6, v21
	s_wait_alu 0xf1ff
	v_add_co_ci_u32_e64 v22, null, s7, 0, s24
	s_clause 0x1
	global_load_b128 v[232:235], v[21:22], off offset:5936
	global_load_b128 v[248:251], v[21:22], off offset:5920
	s_wait_loadcnt_dscnt 0x4
	v_mul_f64_e32 v[21:22], v[55:56], v[250:251]
	s_delay_alu instid0(VALU_DEP_1) | instskip(SKIP_1) | instid1(VALU_DEP_1)
	v_fma_f64 v[93:94], v[53:54], v[248:249], -v[21:22]
	v_mul_f64_e32 v[21:22], v[53:54], v[250:251]
	v_fma_f64 v[55:56], v[55:56], v[248:249], v[21:22]
	s_wait_dscnt 0x3
	v_mul_f64_e32 v[21:22], v[59:60], v[234:235]
	s_delay_alu instid0(VALU_DEP_1) | instskip(SKIP_1) | instid1(VALU_DEP_1)
	v_fma_f64 v[95:96], v[57:58], v[232:233], -v[21:22]
	v_mul_f64_e32 v[21:22], v[57:58], v[234:235]
	v_fma_f64 v[57:58], v[59:60], v[232:233], v[21:22]
	v_mul_u32_u24_e32 v21, 0x5d87, v28
	v_add_f64_e32 v[27:28], v[69:70], v[29:30]
	s_delay_alu instid0(VALU_DEP_2) | instskip(NEXT) | instid1(VALU_DEP_1)
	v_lshrrev_b32_e32 v21, 16, v21
	v_sub_nc_u16 v22, v75, v21
	s_delay_alu instid0(VALU_DEP_1) | instskip(NEXT) | instid1(VALU_DEP_1)
	v_lshrrev_b16 v22, 1, v22
	v_add_nc_u16 v21, v22, v21
	s_delay_alu instid0(VALU_DEP_1) | instskip(NEXT) | instid1(VALU_DEP_1)
	v_lshrrev_b16 v21, 8, v21
	v_mul_lo_u16 v21, 0x177, v21
	s_delay_alu instid0(VALU_DEP_1) | instskip(SKIP_2) | instid1(VALU_DEP_3)
	v_sub_nc_u16 v84, v75, v21
	v_add_f64_e64 v[51:52], v[55:56], -v[57:58]
	v_fma_f64 v[27:28], v[27:28], -0.5, v[19:20]
	v_lshlrev_b16 v21, 5, v84
	s_delay_alu instid0(VALU_DEP_1) | instskip(NEXT) | instid1(VALU_DEP_1)
	v_and_b32_e32 v21, 0xffff, v21
	v_add_co_u32 v21, s24, s6, v21
	s_wait_alu 0xf1ff
	v_add_co_ci_u32_e64 v22, null, s7, 0, s24
	s_clause 0x1
	global_load_b128 v[244:247], v[21:22], off offset:5936
	global_load_b128 v[101:104], v[21:22], off offset:5920
	global_wb scope:SCOPE_SE
	s_wait_storecnt 0x0
	s_wait_loadcnt_dscnt 0x0
	s_barrier_signal -1
	s_barrier_wait -1
	global_inv scope:SCOPE_SE
	v_mul_f64_e32 v[21:22], v[63:64], v[103:104]
	s_delay_alu instid0(VALU_DEP_1) | instskip(SKIP_1) | instid1(VALU_DEP_1)
	v_fma_f64 v[97:98], v[61:62], v[101:102], -v[21:22]
	v_mul_f64_e32 v[21:22], v[61:62], v[103:104]
	v_fma_f64 v[63:64], v[63:64], v[101:102], v[21:22]
	v_mul_f64_e32 v[21:22], v[67:68], v[246:247]
	s_delay_alu instid0(VALU_DEP_1) | instskip(SKIP_1) | instid1(VALU_DEP_1)
	v_fma_f64 v[99:100], v[65:66], v[244:245], -v[21:22]
	v_mul_f64_e32 v[21:22], v[65:66], v[246:247]
	v_fma_f64 v[65:66], v[67:68], v[244:245], v[21:22]
	v_add_f64_e32 v[21:22], v[17:18], v[37:38]
	v_fma_f64 v[17:18], v[25:26], s[20:21], v[23:24]
	v_fma_f64 v[25:26], v[25:26], s[22:23], v[23:24]
	v_add_f64_e32 v[23:24], v[19:20], v[69:70]
	v_add_f64_e64 v[59:60], v[63:64], -v[65:66]
	v_add_f64_e32 v[21:22], v[21:22], v[71:72]
	s_delay_alu instid0(VALU_DEP_3) | instskip(SKIP_2) | instid1(VALU_DEP_2)
	v_add_f64_e32 v[23:24], v[23:24], v[29:30]
	v_add_f64_e64 v[29:30], v[37:38], -v[71:72]
	v_add_f64_e64 v[37:38], v[80:81], -v[82:83]
	v_fma_f64 v[19:20], v[29:30], s[22:23], v[27:28]
	v_fma_f64 v[27:28], v[29:30], s[20:21], v[27:28]
	v_add_f64_e32 v[29:30], v[12:13], v[80:81]
	v_fma_f64 v[12:13], v[33:34], s[20:21], v[31:32]
	v_fma_f64 v[33:34], v[33:34], s[22:23], v[31:32]
	v_add_f64_e32 v[31:32], v[14:15], v[35:36]
	v_add_f64_e32 v[35:36], v[35:36], v[41:42]
	ds_store_b128 v40, v[21:24]
	ds_store_b128 v40, v[17:20] offset:6000
	ds_store_b128 v40, v[25:28] offset:12000
	s_wait_alu 0xfffd
	v_cndmask_b32_e64 v17, 0, 0x465, vcc_lo
	v_add_f64_e32 v[29:30], v[29:30], v[82:83]
	v_add_f64_e32 v[31:32], v[31:32], v[41:42]
	v_fma_f64 v[35:36], v[35:36], -0.5, v[14:15]
	s_delay_alu instid0(VALU_DEP_4) | instskip(SKIP_4) | instid1(VALU_DEP_1)
	v_add_lshl_u32 v17, v79, v17, 4
	scratch_store_b32 off, v17, off offset:540 ; 4-byte Folded Spill
	v_fma_f64 v[14:15], v[37:38], s[22:23], v[35:36]
	v_fma_f64 v[35:36], v[37:38], s[20:21], v[35:36]
	v_add_f64_e32 v[37:38], v[8:9], v[89:90]
	v_add_f64_e32 v[41:42], v[37:38], v[91:92]
	;; [unrolled: 1-line block ×3, first 2 shown]
	s_delay_alu instid0(VALU_DEP_1) | instskip(NEXT) | instid1(VALU_DEP_1)
	v_fma_f64 v[37:38], v[37:38], -0.5, v[8:9]
	v_fma_f64 v[8:9], v[43:44], s[20:21], v[37:38]
	v_fma_f64 v[45:46], v[43:44], s[22:23], v[37:38]
	v_add_f64_e32 v[37:38], v[10:11], v[47:48]
	s_delay_alu instid0(VALU_DEP_1) | instskip(SKIP_2) | instid1(VALU_DEP_2)
	v_add_f64_e32 v[43:44], v[37:38], v[49:50]
	v_add_f64_e32 v[37:38], v[47:48], v[49:50]
	v_add_f64_e64 v[47:48], v[89:90], -v[91:92]
	v_fma_f64 v[37:38], v[37:38], -0.5, v[10:11]
	s_delay_alu instid0(VALU_DEP_1)
	v_fma_f64 v[10:11], v[47:48], s[22:23], v[37:38]
	v_fma_f64 v[47:48], v[47:48], s[20:21], v[37:38]
	v_add_f64_e32 v[37:38], v[4:5], v[93:94]
	ds_store_b128 v17, v[29:32]
	ds_store_b128 v17, v[12:15] offset:6000
	ds_store_b128 v17, v[33:36] offset:12000
	;; [unrolled: 1-line block ×5, first 2 shown]
	v_mad_u16 v8, 0x465, v39, v73
	v_add_f64_e32 v[49:50], v[37:38], v[95:96]
	v_add_f64_e32 v[37:38], v[93:94], v[95:96]
	s_delay_alu instid0(VALU_DEP_3) | instskip(NEXT) | instid1(VALU_DEP_1)
	v_and_b32_e32 v8, 0xffff, v8
	v_lshlrev_b32_e32 v8, 4, v8
	scratch_store_b32 off, v8, off offset:536 ; 4-byte Folded Spill
	v_fma_f64 v[37:38], v[37:38], -0.5, v[4:5]
	s_delay_alu instid0(VALU_DEP_1) | instskip(SKIP_2) | instid1(VALU_DEP_1)
	v_fma_f64 v[4:5], v[51:52], s[20:21], v[37:38]
	v_fma_f64 v[53:54], v[51:52], s[22:23], v[37:38]
	v_add_f64_e32 v[37:38], v[6:7], v[55:56]
	v_add_f64_e32 v[51:52], v[37:38], v[57:58]
	;; [unrolled: 1-line block ×3, first 2 shown]
	v_add_f64_e64 v[55:56], v[93:94], -v[95:96]
	s_delay_alu instid0(VALU_DEP_2) | instskip(NEXT) | instid1(VALU_DEP_1)
	v_fma_f64 v[37:38], v[37:38], -0.5, v[6:7]
	v_fma_f64 v[6:7], v[55:56], s[22:23], v[37:38]
	v_fma_f64 v[55:56], v[55:56], s[20:21], v[37:38]
	v_add_f64_e32 v[37:38], v[0:1], v[97:98]
	ds_store_b128 v8, v[49:52]
	ds_store_b128 v8, v[4:7] offset:6000
	ds_store_b128 v8, v[53:56] offset:12000
	v_and_b32_e32 v4, 0xffff, v84
	v_add_f64_e32 v[57:58], v[37:38], v[99:100]
	v_add_f64_e32 v[37:38], v[97:98], v[99:100]
	s_delay_alu instid0(VALU_DEP_1) | instskip(NEXT) | instid1(VALU_DEP_1)
	v_fma_f64 v[37:38], v[37:38], -0.5, v[0:1]
	v_fma_f64 v[0:1], v[59:60], s[20:21], v[37:38]
	v_fma_f64 v[61:62], v[59:60], s[22:23], v[37:38]
	v_add_f64_e32 v[37:38], v[2:3], v[63:64]
	s_delay_alu instid0(VALU_DEP_1) | instskip(SKIP_3) | instid1(VALU_DEP_3)
	v_add_f64_e32 v[59:60], v[37:38], v[65:66]
	v_add_f64_e32 v[37:38], v[63:64], v[65:66]
	v_add_f64_e64 v[63:64], v[97:98], -v[99:100]
	v_lshlrev_b32_e32 v100, 4, v4
	v_fma_f64 v[37:38], v[37:38], -0.5, v[2:3]
	s_delay_alu instid0(VALU_DEP_1)
	v_fma_f64 v[2:3], v[63:64], s[22:23], v[37:38]
	v_fma_f64 v[63:64], v[63:64], s[20:21], v[37:38]
	ds_store_b128 v100, v[57:60] offset:36000
	ds_store_b128 v100, v[0:3] offset:42000
	;; [unrolled: 1-line block ×3, first 2 shown]
	global_wb scope:SCOPE_SE
	s_wait_storecnt_dscnt 0x0
	s_barrier_signal -1
	s_barrier_wait -1
	global_inv scope:SCOPE_SE
	ds_load_b128 v[8:11], v40
	ds_load_b128 v[12:15], v40 offset:18000
	ds_load_b128 v[17:20], v40 offset:36000
	;; [unrolled: 1-line block ×14, first 2 shown]
	s_clause 0x1
	global_load_b128 v[180:183], v16, s[6:7] offset:17936
	global_load_b128 v[224:227], v16, s[6:7] offset:17920
	s_wait_loadcnt_dscnt 0xd
	v_mul_f64_e32 v[37:38], v[14:15], v[226:227]
	s_delay_alu instid0(VALU_DEP_1) | instskip(SKIP_1) | instid1(VALU_DEP_1)
	v_fma_f64 v[37:38], v[12:13], v[224:225], -v[37:38]
	v_mul_f64_e32 v[12:13], v[12:13], v[226:227]
	v_fma_f64 v[65:66], v[14:15], v[224:225], v[12:13]
	s_wait_dscnt 0xc
	v_mul_f64_e32 v[12:13], v[19:20], v[182:183]
	s_delay_alu instid0(VALU_DEP_1) | instskip(SKIP_1) | instid1(VALU_DEP_1)
	v_fma_f64 v[67:68], v[17:18], v[180:181], -v[12:13]
	v_mul_f64_e32 v[12:13], v[17:18], v[182:183]
	v_fma_f64 v[18:19], v[19:20], v[180:181], v[12:13]
	v_lshlrev_b32_e32 v12, 5, v76
	s_clause 0x1
	global_load_b128 v[228:231], v12, s[6:7] offset:17936
	global_load_b128 v[236:239], v12, s[6:7] offset:17920
	v_lshlrev_b32_e32 v20, 5, v75
	s_wait_loadcnt_dscnt 0xa
	v_mul_f64_e32 v[12:13], v[27:28], v[238:239]
	s_delay_alu instid0(VALU_DEP_1) | instskip(SKIP_1) | instid1(VALU_DEP_1)
	v_fma_f64 v[69:70], v[25:26], v[236:237], -v[12:13]
	v_mul_f64_e32 v[12:13], v[25:26], v[238:239]
	v_fma_f64 v[71:72], v[27:28], v[236:237], v[12:13]
	s_wait_dscnt 0x9
	v_mul_f64_e32 v[12:13], v[31:32], v[230:231]
	v_add_f64_e64 v[27:28], v[65:66], -v[18:19]
	s_delay_alu instid0(VALU_DEP_2) | instskip(SKIP_1) | instid1(VALU_DEP_1)
	v_fma_f64 v[76:77], v[29:30], v[228:229], -v[12:13]
	v_mul_f64_e32 v[12:13], v[29:30], v[230:231]
	v_fma_f64 v[31:32], v[31:32], v[228:229], v[12:13]
	v_lshlrev_b32_e32 v12, 5, v78
	s_clause 0x1
	global_load_b128 v[240:243], v12, s[6:7] offset:17936
	global_load_b128 v[252:255], v12, s[6:7] offset:17920
	s_wait_loadcnt_dscnt 0x106
	v_mul_f64_e32 v[16:17], v[45:46], v[242:243]
	v_mul_f64_e32 v[14:15], v[47:48], v[242:243]
	s_wait_loadcnt 0x0
	v_mul_f64_e32 v[12:13], v[43:44], v[254:255]
	s_delay_alu instid0(VALU_DEP_3)
	v_fma_f64 v[47:48], v[47:48], v[240:241], v[16:17]
	v_lshlrev_b32_e32 v16, 5, v74
	s_clause 0x3
	global_load_b128 v[109:112], v16, s[6:7] offset:17936
	global_load_b128 v[105:108], v16, s[6:7] offset:17920
	;; [unrolled: 1-line block ×4, first 2 shown]
	v_fma_f64 v[78:79], v[41:42], v[252:253], -v[12:13]
	v_mul_f64_e32 v[12:13], v[41:42], v[254:255]
	v_fma_f64 v[14:15], v[45:46], v[240:241], -v[14:15]
	s_delay_alu instid0(VALU_DEP_2) | instskip(SKIP_4) | instid1(VALU_DEP_2)
	v_fma_f64 v[12:13], v[43:44], v[252:253], v[12:13]
	s_wait_loadcnt_dscnt 0x303
	v_mul_f64_e32 v[25:26], v[55:56], v[111:112]
	s_wait_loadcnt 0x2
	v_mul_f64_e32 v[16:17], v[51:52], v[107:108]
	v_fma_f64 v[73:74], v[53:54], v[109:110], -v[25:26]
	v_mul_f64_e32 v[25:26], v[53:54], v[111:112]
	s_delay_alu instid0(VALU_DEP_3) | instskip(SKIP_1) | instid1(VALU_DEP_3)
	v_fma_f64 v[80:81], v[49:50], v[105:106], -v[16:17]
	v_mul_f64_e32 v[16:17], v[49:50], v[107:108]
	v_fma_f64 v[55:56], v[55:56], v[109:110], v[25:26]
	s_wait_loadcnt_dscnt 0x1
	v_mul_f64_e32 v[25:26], v[59:60], v[94:95]
	s_delay_alu instid0(VALU_DEP_3) | instskip(NEXT) | instid1(VALU_DEP_2)
	v_fma_f64 v[16:17], v[51:52], v[105:106], v[16:17]
	v_fma_f64 v[98:99], v[57:58], v[92:93], -v[25:26]
	v_mul_f64_e32 v[25:26], v[57:58], v[94:95]
	s_delay_alu instid0(VALU_DEP_1) | instskip(SKIP_2) | instid1(VALU_DEP_1)
	v_fma_f64 v[86:87], v[59:60], v[92:93], v[25:26]
	s_wait_dscnt 0x0
	v_mul_f64_e32 v[25:26], v[63:64], v[115:116]
	v_fma_f64 v[96:97], v[61:62], v[113:114], -v[25:26]
	v_mul_f64_e32 v[25:26], v[61:62], v[115:116]
	s_delay_alu instid0(VALU_DEP_1) | instskip(SKIP_1) | instid1(VALU_DEP_1)
	v_fma_f64 v[63:64], v[63:64], v[113:114], v[25:26]
	v_add_f64_e32 v[25:26], v[8:9], v[37:38]
	v_add_f64_e32 v[88:89], v[25:26], v[67:68]
	;; [unrolled: 1-line block ×3, first 2 shown]
	s_delay_alu instid0(VALU_DEP_1) | instskip(NEXT) | instid1(VALU_DEP_1)
	v_fma_f64 v[25:26], v[25:26], -0.5, v[8:9]
	v_fma_f64 v[8:9], v[27:28], s[20:21], v[25:26]
	v_fma_f64 v[82:83], v[27:28], s[22:23], v[25:26]
	v_add_f64_e32 v[25:26], v[10:11], v[65:66]
	v_add_f64_e64 v[27:28], v[71:72], -v[31:32]
	s_delay_alu instid0(VALU_DEP_2) | instskip(SKIP_3) | instid1(VALU_DEP_3)
	v_add_f64_e32 v[90:91], v[25:26], v[18:19]
	v_add_f64_e32 v[18:19], v[65:66], v[18:19]
	v_add_f64_e64 v[25:26], v[37:38], -v[67:68]
	v_add_f64_e64 v[37:38], v[12:13], -v[47:48]
	v_fma_f64 v[18:19], v[18:19], -0.5, v[10:11]
	s_delay_alu instid0(VALU_DEP_1) | instskip(SKIP_2) | instid1(VALU_DEP_1)
	v_fma_f64 v[10:11], v[25:26], s[22:23], v[18:19]
	v_fma_f64 v[84:85], v[25:26], s[20:21], v[18:19]
	v_add_f64_e32 v[18:19], v[21:22], v[69:70]
	v_add_f64_e32 v[25:26], v[18:19], v[76:77]
	;; [unrolled: 1-line block ×3, first 2 shown]
	s_delay_alu instid0(VALU_DEP_1) | instskip(NEXT) | instid1(VALU_DEP_1)
	v_fma_f64 v[18:19], v[18:19], -0.5, v[21:22]
	v_fma_f64 v[20:21], v[27:28], s[20:21], v[18:19]
	v_fma_f64 v[29:30], v[27:28], s[22:23], v[18:19]
	v_add_f64_e32 v[18:19], v[23:24], v[71:72]
	s_delay_alu instid0(VALU_DEP_1) | instskip(SKIP_2) | instid1(VALU_DEP_2)
	v_add_f64_e32 v[27:28], v[18:19], v[31:32]
	v_add_f64_e32 v[18:19], v[71:72], v[31:32]
	v_add_f64_e64 v[31:32], v[69:70], -v[76:77]
	v_fma_f64 v[18:19], v[18:19], -0.5, v[23:24]
	s_delay_alu instid0(VALU_DEP_1) | instskip(SKIP_2) | instid1(VALU_DEP_1)
	v_fma_f64 v[22:23], v[31:32], s[22:23], v[18:19]
	v_fma_f64 v[31:32], v[31:32], s[20:21], v[18:19]
	v_add_f64_e32 v[18:19], v[33:34], v[78:79]
	v_add_f64_e32 v[41:42], v[18:19], v[14:15]
	;; [unrolled: 1-line block ×3, first 2 shown]
	v_add_f64_e64 v[14:15], v[78:79], -v[14:15]
	s_delay_alu instid0(VALU_DEP_2) | instskip(NEXT) | instid1(VALU_DEP_1)
	v_fma_f64 v[18:19], v[18:19], -0.5, v[33:34]
	v_fma_f64 v[33:34], v[37:38], s[20:21], v[18:19]
	v_fma_f64 v[45:46], v[37:38], s[22:23], v[18:19]
	v_add_f64_e32 v[18:19], v[35:36], v[12:13]
	v_add_f64_e32 v[12:13], v[12:13], v[47:48]
	s_delay_alu instid0(VALU_DEP_2) | instskip(NEXT) | instid1(VALU_DEP_2)
	v_add_f64_e32 v[43:44], v[18:19], v[47:48]
	v_fma_f64 v[12:13], v[12:13], -0.5, v[35:36]
	s_delay_alu instid0(VALU_DEP_1) | instskip(SKIP_3) | instid1(VALU_DEP_2)
	v_fma_f64 v[35:36], v[14:15], s[22:23], v[12:13]
	v_fma_f64 v[47:48], v[14:15], s[20:21], v[12:13]
	v_add_f64_e32 v[12:13], v[4:5], v[80:81]
	v_add_f64_e64 v[14:15], v[16:17], -v[55:56]
	v_add_f64_e32 v[49:50], v[12:13], v[73:74]
	v_add_f64_e32 v[12:13], v[80:81], v[73:74]
	s_delay_alu instid0(VALU_DEP_1) | instskip(NEXT) | instid1(VALU_DEP_1)
	v_fma_f64 v[12:13], v[12:13], -0.5, v[4:5]
	v_fma_f64 v[4:5], v[14:15], s[20:21], v[12:13]
	v_fma_f64 v[53:54], v[14:15], s[22:23], v[12:13]
	v_add_f64_e32 v[12:13], v[6:7], v[16:17]
	v_add_f64_e64 v[14:15], v[80:81], -v[73:74]
	s_delay_alu instid0(VALU_DEP_2) | instskip(SKIP_1) | instid1(VALU_DEP_1)
	v_add_f64_e32 v[51:52], v[12:13], v[55:56]
	v_add_f64_e32 v[12:13], v[16:17], v[55:56]
	v_fma_f64 v[12:13], v[12:13], -0.5, v[6:7]
	s_delay_alu instid0(VALU_DEP_1) | instskip(SKIP_3) | instid1(VALU_DEP_2)
	v_fma_f64 v[6:7], v[14:15], s[22:23], v[12:13]
	v_fma_f64 v[55:56], v[14:15], s[20:21], v[12:13]
	v_add_f64_e32 v[12:13], v[0:1], v[98:99]
	v_add_f64_e64 v[14:15], v[86:87], -v[63:64]
	v_add_f64_e32 v[57:58], v[12:13], v[96:97]
	v_add_f64_e32 v[12:13], v[98:99], v[96:97]
	s_delay_alu instid0(VALU_DEP_1) | instskip(NEXT) | instid1(VALU_DEP_1)
	v_fma_f64 v[12:13], v[12:13], -0.5, v[0:1]
	v_fma_f64 v[0:1], v[14:15], s[20:21], v[12:13]
	v_fma_f64 v[61:62], v[14:15], s[22:23], v[12:13]
	v_add_f64_e32 v[12:13], v[2:3], v[86:87]
	v_add_f64_e64 v[14:15], v[98:99], -v[96:97]
	s_delay_alu instid0(VALU_DEP_2) | instskip(SKIP_1) | instid1(VALU_DEP_1)
	v_add_f64_e32 v[59:60], v[12:13], v[63:64]
	v_add_f64_e32 v[12:13], v[86:87], v[63:64]
	v_fma_f64 v[12:13], v[12:13], -0.5, v[2:3]
	s_delay_alu instid0(VALU_DEP_1)
	v_fma_f64 v[2:3], v[14:15], s[22:23], v[12:13]
	v_fma_f64 v[63:64], v[14:15], s[20:21], v[12:13]
	ds_store_b128 v40, v[88:91]
	ds_store_b128 v40, v[8:11] offset:18000
	ds_store_b128 v40, v[82:85] offset:36000
	;; [unrolled: 1-line block ×14, first 2 shown]
	global_wb scope:SCOPE_SE
	s_wait_dscnt 0x0
	s_barrier_signal -1
	s_barrier_wait -1
	global_inv scope:SCOPE_SE
	ds_load_b128 v[0:3], v40
	global_load_b128 v[4:7], v40, s[4:5] offset:54000
	s_mul_u64 s[4:5], s[0:1], 0x2a30
	s_wait_loadcnt_dscnt 0x0
	v_mul_f64_e32 v[8:9], v[2:3], v[6:7]
	s_delay_alu instid0(VALU_DEP_1) | instskip(SKIP_1) | instid1(VALU_DEP_1)
	v_fma_f64 v[8:9], v[0:1], v[4:5], -v[8:9]
	v_mul_f64_e32 v[0:1], v[0:1], v[6:7]
	v_fma_f64 v[10:11], v[2:3], v[4:5], v[0:1]
	ds_load_b128 v[0:3], v40 offset:10800
	global_load_b128 v[4:7], v40, s[18:19] offset:10800
	ds_store_b128 v40, v[8:11]
	s_wait_loadcnt_dscnt 0x1
	v_mul_f64_e32 v[8:9], v[2:3], v[6:7]
	s_delay_alu instid0(VALU_DEP_1) | instskip(SKIP_1) | instid1(VALU_DEP_1)
	v_fma_f64 v[8:9], v[0:1], v[4:5], -v[8:9]
	v_mul_f64_e32 v[0:1], v[0:1], v[6:7]
	v_fma_f64 v[10:11], v[2:3], v[4:5], v[0:1]
	ds_load_b128 v[0:3], v40 offset:21600
	global_load_b128 v[4:7], v40, s[18:19] offset:21600
	ds_store_b128 v40, v[8:11] offset:10800
	s_wait_loadcnt_dscnt 0x1
	v_mul_f64_e32 v[8:9], v[2:3], v[6:7]
	s_delay_alu instid0(VALU_DEP_1) | instskip(SKIP_1) | instid1(VALU_DEP_1)
	v_fma_f64 v[8:9], v[0:1], v[4:5], -v[8:9]
	v_mul_f64_e32 v[0:1], v[0:1], v[6:7]
	v_fma_f64 v[10:11], v[2:3], v[4:5], v[0:1]
	ds_load_b128 v[0:3], v40 offset:32400
	global_load_b128 v[4:7], v40, s[18:19] offset:32400
	ds_store_b128 v40, v[8:11] offset:21600
	;; [unrolled: 9-line block ×13, first 2 shown]
	s_wait_loadcnt_dscnt 0x1
	v_mul_f64_e32 v[8:9], v[2:3], v[6:7]
	s_delay_alu instid0(VALU_DEP_1) | instskip(SKIP_1) | instid1(VALU_DEP_1)
	v_fma_f64 v[8:9], v[0:1], v[4:5], -v[8:9]
	v_mul_f64_e32 v[0:1], v[0:1], v[6:7]
	v_fma_f64 v[10:11], v[2:3], v[4:5], v[0:1]
	ds_store_b128 v40, v[8:11] offset:50400
	global_wb scope:SCOPE_SE
	s_wait_dscnt 0x0
	s_barrier_signal -1
	s_barrier_wait -1
	global_inv scope:SCOPE_SE
	ds_load_b128 v[36:39], v40
	ds_load_b128 v[41:44], v40 offset:10800
	ds_load_b128 v[45:48], v40 offset:21600
	;; [unrolled: 1-line block ×14, first 2 shown]
	global_wb scope:SCOPE_SE
	s_wait_dscnt 0x0
	s_barrier_signal -1
	s_barrier_wait -1
	global_inv scope:SCOPE_SE
	v_add_f64_e32 v[61:62], v[36:37], v[41:42]
	v_add_f64_e64 v[69:70], v[41:42], -v[45:46]
	v_add_f64_e64 v[67:68], v[47:48], -v[51:52]
	;; [unrolled: 1-line block ×4, first 2 shown]
	v_add_f64_e32 v[61:62], v[61:62], v[45:46]
	s_delay_alu instid0(VALU_DEP_2) | instskip(NEXT) | instid1(VALU_DEP_2)
	v_add_f64_e32 v[71:72], v[69:70], v[71:72]
	v_add_f64_e32 v[61:62], v[61:62], v[49:50]
	s_delay_alu instid0(VALU_DEP_1) | instskip(SKIP_1) | instid1(VALU_DEP_1)
	v_add_f64_e32 v[73:74], v[61:62], v[53:54]
	v_add_f64_e32 v[61:62], v[45:46], v[49:50]
	v_fma_f64 v[61:62], v[61:62], -0.5, v[36:37]
	s_delay_alu instid0(VALU_DEP_1) | instskip(SKIP_1) | instid1(VALU_DEP_2)
	v_fma_f64 v[65:66], v[63:64], s[16:17], v[61:62]
	v_fma_f64 v[61:62], v[63:64], s[2:3], v[61:62]
	;; [unrolled: 1-line block ×3, first 2 shown]
	s_delay_alu instid0(VALU_DEP_2) | instskip(NEXT) | instid1(VALU_DEP_2)
	v_fma_f64 v[61:62], v[67:68], s[10:11], v[61:62]
	v_fma_f64 v[69:70], v[71:72], s[8:9], v[65:66]
	s_delay_alu instid0(VALU_DEP_2)
	v_fma_f64 v[77:78], v[71:72], s[8:9], v[61:62]
	v_add_f64_e32 v[61:62], v[41:42], v[53:54]
	v_add_f64_e64 v[65:66], v[45:46], -v[41:42]
	v_add_f64_e64 v[71:72], v[49:50], -v[53:54]
	;; [unrolled: 1-line block ×4, first 2 shown]
	v_fma_f64 v[36:37], v[61:62], -0.5, v[36:37]
	s_delay_alu instid0(VALU_DEP_4) | instskip(NEXT) | instid1(VALU_DEP_2)
	v_add_f64_e32 v[65:66], v[65:66], v[71:72]
	v_fma_f64 v[61:62], v[67:68], s[2:3], v[36:37]
	v_fma_f64 v[36:37], v[67:68], s[16:17], v[36:37]
	s_delay_alu instid0(VALU_DEP_2) | instskip(NEXT) | instid1(VALU_DEP_2)
	v_fma_f64 v[61:62], v[63:64], s[14:15], v[61:62]
	v_fma_f64 v[36:37], v[63:64], s[10:11], v[36:37]
	v_add_f64_e64 v[63:64], v[55:56], -v[51:52]
	s_delay_alu instid0(VALU_DEP_3) | instskip(NEXT) | instid1(VALU_DEP_3)
	v_fma_f64 v[61:62], v[65:66], s[8:9], v[61:62]
	v_fma_f64 v[65:66], v[65:66], s[8:9], v[36:37]
	v_add_f64_e32 v[36:37], v[38:39], v[43:44]
	s_delay_alu instid0(VALU_DEP_1) | instskip(NEXT) | instid1(VALU_DEP_1)
	v_add_f64_e32 v[36:37], v[36:37], v[47:48]
	v_add_f64_e32 v[36:37], v[36:37], v[51:52]
	s_delay_alu instid0(VALU_DEP_1) | instskip(SKIP_1) | instid1(VALU_DEP_1)
	v_add_f64_e32 v[75:76], v[36:37], v[55:56]
	v_add_f64_e32 v[36:37], v[47:48], v[51:52]
	v_fma_f64 v[36:37], v[36:37], -0.5, v[38:39]
	s_delay_alu instid0(VALU_DEP_1) | instskip(SKIP_1) | instid1(VALU_DEP_2)
	v_fma_f64 v[53:54], v[41:42], s[2:3], v[36:37]
	v_fma_f64 v[36:37], v[41:42], s[16:17], v[36:37]
	;; [unrolled: 1-line block ×3, first 2 shown]
	v_add_f64_e64 v[53:54], v[43:44], -v[47:48]
	s_delay_alu instid0(VALU_DEP_3) | instskip(NEXT) | instid1(VALU_DEP_2)
	v_fma_f64 v[36:37], v[45:46], s[14:15], v[36:37]
	v_add_f64_e32 v[53:54], v[53:54], v[63:64]
	s_delay_alu instid0(VALU_DEP_1) | instskip(SKIP_4) | instid1(VALU_DEP_4)
	v_fma_f64 v[79:80], v[53:54], s[8:9], v[36:37]
	v_add_f64_e32 v[36:37], v[43:44], v[55:56]
	v_add_f64_e64 v[43:44], v[47:48], -v[43:44]
	v_add_f64_e64 v[47:48], v[51:52], -v[55:56]
	v_fma_f64 v[71:72], v[53:54], s[8:9], v[49:50]
	v_fma_f64 v[36:37], v[36:37], -0.5, v[38:39]
	s_delay_alu instid0(VALU_DEP_3) | instskip(SKIP_1) | instid1(VALU_DEP_3)
	v_add_f64_e32 v[43:44], v[43:44], v[47:48]
	v_add_f64_e64 v[47:48], v[8:9], -v[12:13]
	v_fma_f64 v[38:39], v[45:46], s[16:17], v[36:37]
	v_fma_f64 v[36:37], v[45:46], s[2:3], v[36:37]
	v_add_f64_e64 v[45:46], v[4:5], -v[0:1]
	s_delay_alu instid0(VALU_DEP_3) | instskip(NEXT) | instid1(VALU_DEP_3)
	v_fma_f64 v[38:39], v[41:42], s[10:11], v[38:39]
	v_fma_f64 v[36:37], v[41:42], s[14:15], v[36:37]
	s_delay_alu instid0(VALU_DEP_3) | instskip(NEXT) | instid1(VALU_DEP_3)
	v_add_f64_e32 v[47:48], v[45:46], v[47:48]
	v_fma_f64 v[63:64], v[43:44], s[8:9], v[38:39]
	s_delay_alu instid0(VALU_DEP_3) | instskip(SKIP_3) | instid1(VALU_DEP_3)
	v_fma_f64 v[67:68], v[43:44], s[8:9], v[36:37]
	v_add_f64_e32 v[36:37], v[32:33], v[4:5]
	v_add_f64_e64 v[38:39], v[6:7], -v[10:11]
	v_add_f64_e64 v[43:44], v[2:3], -v[14:15]
	v_add_f64_e32 v[36:37], v[36:37], v[0:1]
	s_delay_alu instid0(VALU_DEP_1) | instskip(NEXT) | instid1(VALU_DEP_1)
	v_add_f64_e32 v[36:37], v[36:37], v[12:13]
	v_add_f64_e32 v[49:50], v[36:37], v[8:9]
	v_add_f64_e32 v[36:37], v[0:1], v[12:13]
	s_delay_alu instid0(VALU_DEP_1) | instskip(NEXT) | instid1(VALU_DEP_1)
	v_fma_f64 v[36:37], v[36:37], -0.5, v[32:33]
	v_fma_f64 v[41:42], v[38:39], s[16:17], v[36:37]
	v_fma_f64 v[36:37], v[38:39], s[2:3], v[36:37]
	s_delay_alu instid0(VALU_DEP_2) | instskip(NEXT) | instid1(VALU_DEP_2)
	v_fma_f64 v[41:42], v[43:44], s[14:15], v[41:42]
	v_fma_f64 v[36:37], v[43:44], s[10:11], v[36:37]
	s_delay_alu instid0(VALU_DEP_2) | instskip(NEXT) | instid1(VALU_DEP_2)
	v_fma_f64 v[45:46], v[47:48], s[8:9], v[41:42]
	v_fma_f64 v[53:54], v[47:48], s[8:9], v[36:37]
	v_add_f64_e32 v[36:37], v[4:5], v[8:9]
	v_add_f64_e64 v[41:42], v[0:1], -v[4:5]
	v_add_f64_e64 v[47:48], v[12:13], -v[8:9]
	;; [unrolled: 1-line block ×5, first 2 shown]
	v_fma_f64 v[32:33], v[36:37], -0.5, v[32:33]
	v_add_f64_e32 v[41:42], v[41:42], v[47:48]
	s_delay_alu instid0(VALU_DEP_2) | instskip(SKIP_1) | instid1(VALU_DEP_2)
	v_fma_f64 v[36:37], v[43:44], s[2:3], v[32:33]
	v_fma_f64 v[32:33], v[43:44], s[16:17], v[32:33]
	;; [unrolled: 1-line block ×3, first 2 shown]
	s_delay_alu instid0(VALU_DEP_2) | instskip(SKIP_1) | instid1(VALU_DEP_3)
	v_fma_f64 v[32:33], v[38:39], s[10:11], v[32:33]
	v_add_f64_e64 v[38:39], v[10:11], -v[14:15]
	v_fma_f64 v[36:37], v[41:42], s[8:9], v[36:37]
	s_delay_alu instid0(VALU_DEP_3) | instskip(SKIP_1) | instid1(VALU_DEP_4)
	v_fma_f64 v[41:42], v[41:42], s[8:9], v[32:33]
	v_add_f64_e32 v[32:33], v[34:35], v[6:7]
	v_add_f64_e32 v[12:13], v[12:13], v[38:39]
	s_delay_alu instid0(VALU_DEP_2) | instskip(NEXT) | instid1(VALU_DEP_1)
	v_add_f64_e32 v[32:33], v[32:33], v[2:3]
	v_add_f64_e32 v[32:33], v[32:33], v[14:15]
	s_delay_alu instid0(VALU_DEP_1) | instskip(SKIP_2) | instid1(VALU_DEP_2)
	v_add_f64_e32 v[51:52], v[32:33], v[10:11]
	v_add_f64_e32 v[32:33], v[2:3], v[14:15]
	v_add_f64_e64 v[2:3], v[2:3], -v[6:7]
	v_fma_f64 v[32:33], v[32:33], -0.5, v[34:35]
	s_delay_alu instid0(VALU_DEP_1) | instskip(NEXT) | instid1(VALU_DEP_1)
	v_fma_f64 v[8:9], v[4:5], s[2:3], v[32:33]
	v_fma_f64 v[8:9], v[0:1], s[10:11], v[8:9]
	s_delay_alu instid0(VALU_DEP_1) | instskip(SKIP_2) | instid1(VALU_DEP_2)
	v_fma_f64 v[47:48], v[12:13], s[8:9], v[8:9]
	v_fma_f64 v[8:9], v[4:5], s[16:17], v[32:33]
	v_add_f64_e64 v[32:33], v[28:29], -v[24:25]
	v_fma_f64 v[8:9], v[0:1], s[14:15], v[8:9]
	s_delay_alu instid0(VALU_DEP_1) | instskip(SKIP_4) | instid1(VALU_DEP_4)
	v_fma_f64 v[55:56], v[12:13], s[8:9], v[8:9]
	v_add_f64_e32 v[8:9], v[6:7], v[10:11]
	v_add_f64_e64 v[6:7], v[14:15], -v[10:11]
	v_add_f64_e64 v[10:11], v[18:19], -v[30:31]
	;; [unrolled: 1-line block ×3, first 2 shown]
	v_fma_f64 v[8:9], v[8:9], -0.5, v[34:35]
	s_delay_alu instid0(VALU_DEP_4) | instskip(SKIP_1) | instid1(VALU_DEP_4)
	v_add_f64_e32 v[2:3], v[2:3], v[6:7]
	v_add_f64_e64 v[6:7], v[22:23], -v[26:27]
	v_add_f64_e32 v[14:15], v[14:15], v[32:33]
	s_delay_alu instid0(VALU_DEP_4) | instskip(SKIP_2) | instid1(VALU_DEP_3)
	v_fma_f64 v[12:13], v[0:1], s[16:17], v[8:9]
	v_fma_f64 v[0:1], v[0:1], s[2:3], v[8:9]
	v_add_f64_e64 v[8:9], v[20:21], -v[16:17]
	v_fma_f64 v[12:13], v[4:5], s[10:11], v[12:13]
	s_delay_alu instid0(VALU_DEP_3) | instskip(NEXT) | instid1(VALU_DEP_2)
	v_fma_f64 v[0:1], v[4:5], s[14:15], v[0:1]
	v_fma_f64 v[38:39], v[2:3], s[8:9], v[12:13]
	s_delay_alu instid0(VALU_DEP_2) | instskip(SKIP_3) | instid1(VALU_DEP_3)
	v_fma_f64 v[43:44], v[2:3], s[8:9], v[0:1]
	v_add_f64_e32 v[2:3], v[16:17], v[28:29]
	v_add_f64_e64 v[12:13], v[24:25], -v[28:29]
	v_add_f64_e32 v[0:1], v[57:58], v[20:21]
	v_fma_f64 v[2:3], v[2:3], -0.5, v[57:58]
	s_delay_alu instid0(VALU_DEP_3) | instskip(NEXT) | instid1(VALU_DEP_3)
	v_add_f64_e32 v[8:9], v[8:9], v[12:13]
	v_add_f64_e32 v[0:1], v[0:1], v[16:17]
	v_add_f64_e64 v[16:17], v[16:17], -v[28:29]
	s_delay_alu instid0(VALU_DEP_4) | instskip(SKIP_1) | instid1(VALU_DEP_4)
	v_fma_f64 v[4:5], v[6:7], s[16:17], v[2:3]
	v_fma_f64 v[2:3], v[6:7], s[2:3], v[2:3]
	v_add_f64_e32 v[0:1], v[0:1], v[28:29]
	s_delay_alu instid0(VALU_DEP_3) | instskip(NEXT) | instid1(VALU_DEP_3)
	v_fma_f64 v[4:5], v[10:11], s[14:15], v[4:5]
	v_fma_f64 v[2:3], v[10:11], s[10:11], v[2:3]
	s_delay_alu instid0(VALU_DEP_3) | instskip(NEXT) | instid1(VALU_DEP_3)
	v_add_f64_e32 v[0:1], v[0:1], v[24:25]
	v_fma_f64 v[4:5], v[8:9], s[8:9], v[4:5]
	s_delay_alu instid0(VALU_DEP_3) | instskip(SKIP_3) | instid1(VALU_DEP_3)
	v_fma_f64 v[8:9], v[8:9], s[8:9], v[2:3]
	v_add_f64_e32 v[2:3], v[20:21], v[24:25]
	v_add_f64_e64 v[20:21], v[20:21], -v[24:25]
	v_add_f64_e64 v[24:25], v[26:27], -v[30:31]
	v_fma_f64 v[2:3], v[2:3], -0.5, v[57:58]
	s_delay_alu instid0(VALU_DEP_1) | instskip(SKIP_1) | instid1(VALU_DEP_2)
	v_fma_f64 v[12:13], v[10:11], s[2:3], v[2:3]
	v_fma_f64 v[2:3], v[10:11], s[16:17], v[2:3]
	;; [unrolled: 1-line block ×3, first 2 shown]
	s_delay_alu instid0(VALU_DEP_2) | instskip(SKIP_1) | instid1(VALU_DEP_3)
	v_fma_f64 v[2:3], v[6:7], s[10:11], v[2:3]
	v_add_f64_e32 v[6:7], v[18:19], v[30:31]
	v_fma_f64 v[12:13], v[14:15], s[8:9], v[12:13]
	s_delay_alu instid0(VALU_DEP_3) | instskip(NEXT) | instid1(VALU_DEP_3)
	v_fma_f64 v[32:33], v[14:15], s[8:9], v[2:3]
	v_fma_f64 v[10:11], v[6:7], -0.5, v[59:60]
	v_add_f64_e64 v[14:15], v[22:23], -v[18:19]
	v_add_f64_e32 v[2:3], v[59:60], v[22:23]
	s_delay_alu instid0(VALU_DEP_3) | instskip(SKIP_1) | instid1(VALU_DEP_4)
	v_fma_f64 v[6:7], v[20:21], s[2:3], v[10:11]
	v_fma_f64 v[10:11], v[20:21], s[16:17], v[10:11]
	v_add_f64_e32 v[14:15], v[14:15], v[24:25]
	s_delay_alu instid0(VALU_DEP_4) | instskip(SKIP_3) | instid1(VALU_DEP_4)
	v_add_f64_e32 v[2:3], v[2:3], v[18:19]
	v_add_f64_e64 v[18:19], v[18:19], -v[22:23]
	v_fma_f64 v[6:7], v[16:17], s[10:11], v[6:7]
	v_fma_f64 v[10:11], v[16:17], s[14:15], v[10:11]
	v_add_f64_e32 v[2:3], v[2:3], v[30:31]
	s_delay_alu instid0(VALU_DEP_3) | instskip(NEXT) | instid1(VALU_DEP_3)
	v_fma_f64 v[6:7], v[14:15], s[8:9], v[6:7]
	v_fma_f64 v[10:11], v[14:15], s[8:9], v[10:11]
	v_add_f64_e32 v[14:15], v[22:23], v[26:27]
	v_add_f64_e64 v[22:23], v[30:31], -v[26:27]
	v_add_f64_e32 v[2:3], v[2:3], v[26:27]
	s_delay_alu instid0(VALU_DEP_3) | instskip(NEXT) | instid1(VALU_DEP_3)
	v_fma_f64 v[24:25], v[14:15], -0.5, v[59:60]
	v_add_f64_e32 v[18:19], v[18:19], v[22:23]
	s_delay_alu instid0(VALU_DEP_2) | instskip(SKIP_1) | instid1(VALU_DEP_2)
	v_fma_f64 v[14:15], v[16:17], s[16:17], v[24:25]
	v_fma_f64 v[16:17], v[16:17], s[2:3], v[24:25]
	;; [unrolled: 1-line block ×3, first 2 shown]
	s_delay_alu instid0(VALU_DEP_2) | instskip(NEXT) | instid1(VALU_DEP_2)
	v_fma_f64 v[16:17], v[20:21], s[14:15], v[16:17]
	v_fma_f64 v[14:15], v[18:19], s[8:9], v[14:15]
	s_delay_alu instid0(VALU_DEP_2)
	v_fma_f64 v[34:35], v[18:19], s[8:9], v[16:17]
	scratch_load_b32 v16, off, off offset:256 th:TH_LOAD_LU ; 4-byte Folded Reload
	s_wait_loadcnt 0x0
	ds_store_b128 v16, v[73:76]
	ds_store_b128 v16, v[69:72] offset:16
	ds_store_b128 v16, v[61:64] offset:32
	ds_store_b128 v16, v[65:68] offset:48
	ds_store_b128 v16, v[77:80] offset:64
	scratch_load_b32 v16, off, off offset:252 th:TH_LOAD_LU ; 4-byte Folded Reload
	s_wait_loadcnt 0x0
	ds_store_b128 v16, v[49:52]
	ds_store_b128 v16, v[45:48] offset:16
	ds_store_b128 v16, v[36:39] offset:32
	ds_store_b128 v16, v[41:44] offset:48
	ds_store_b128 v16, v[53:56] offset:64
	;; [unrolled: 7-line block ×3, first 2 shown]
	global_wb scope:SCOPE_SE
	s_wait_dscnt 0x0
	s_barrier_signal -1
	s_barrier_wait -1
	global_inv scope:SCOPE_SE
	ds_load_b128 v[0:3], v40
	ds_load_b128 v[4:7], v40 offset:10800
	ds_load_b128 v[8:11], v40 offset:21600
	;; [unrolled: 1-line block ×14, first 2 shown]
	scratch_load_b128 v[64:67], off, off offset:308 th:TH_LOAD_LU ; 16-byte Folded Reload
	s_wait_loadcnt_dscnt 0xd
	v_mul_f64_e32 v[61:62], v[66:67], v[6:7]
	s_delay_alu instid0(VALU_DEP_1) | instskip(SKIP_1) | instid1(VALU_DEP_1)
	v_fma_f64 v[62:63], v[64:65], v[4:5], v[61:62]
	v_mul_f64_e32 v[4:5], v[66:67], v[4:5]
	v_fma_f64 v[4:5], v[64:65], v[6:7], -v[4:5]
	scratch_load_b128 v[64:67], off, off offset:292 th:TH_LOAD_LU ; 16-byte Folded Reload
	s_wait_loadcnt_dscnt 0xc
	v_mul_f64_e32 v[6:7], v[66:67], v[10:11]
	s_delay_alu instid0(VALU_DEP_1) | instskip(SKIP_1) | instid1(VALU_DEP_1)
	v_fma_f64 v[6:7], v[64:65], v[8:9], v[6:7]
	v_mul_f64_e32 v[8:9], v[66:67], v[8:9]
	v_fma_f64 v[8:9], v[64:65], v[10:11], -v[8:9]
	;; [unrolled: 7-line block ×3, first 2 shown]
	scratch_load_b128 v[64:67], off, off offset:260 th:TH_LOAD_LU ; 16-byte Folded Reload
	s_wait_loadcnt_dscnt 0xa
	v_mul_f64_e32 v[18:19], v[66:67], v[22:23]
	s_delay_alu instid0(VALU_DEP_1)
	v_fma_f64 v[18:19], v[64:65], v[20:21], v[18:19]
	v_mul_f64_e32 v[20:21], v[66:67], v[20:21]
	scratch_load_b128 v[66:69], off, off offset:376 th:TH_LOAD_LU ; 16-byte Folded Reload
	v_fma_f64 v[64:65], v[64:65], v[22:23], -v[20:21]
	s_wait_loadcnt_dscnt 0x8
	v_mul_f64_e32 v[20:21], v[68:69], v[26:27]
	s_delay_alu instid0(VALU_DEP_1)
	v_fma_f64 v[70:71], v[66:67], v[24:25], v[20:21]
	v_mul_f64_e32 v[20:21], v[68:69], v[24:25]
	scratch_load_b128 v[22:25], off, off offset:360 th:TH_LOAD_LU ; 16-byte Folded Reload
	v_fma_f64 v[74:75], v[66:67], v[26:27], -v[20:21]
	s_wait_loadcnt_dscnt 0x7
	v_mul_f64_e32 v[20:21], v[24:25], v[30:31]
	s_delay_alu instid0(VALU_DEP_1) | instskip(SKIP_2) | instid1(VALU_DEP_2)
	v_fma_f64 v[76:77], v[22:23], v[28:29], v[20:21]
	v_mul_f64_e32 v[20:21], v[24:25], v[28:29]
	v_add_f64_e64 v[28:29], v[62:63], -v[6:7]
	v_fma_f64 v[78:79], v[22:23], v[30:31], -v[20:21]
	scratch_load_b128 v[22:25], off, off offset:328 th:TH_LOAD_LU ; 16-byte Folded Reload
	v_add_f64_e64 v[30:31], v[8:9], -v[16:17]
	s_wait_loadcnt_dscnt 0x6
	v_mul_f64_e32 v[20:21], v[24:25], v[34:35]
	s_delay_alu instid0(VALU_DEP_1) | instskip(SKIP_2) | instid1(VALU_DEP_2)
	v_fma_f64 v[80:81], v[22:23], v[32:33], v[20:21]
	v_mul_f64_e32 v[20:21], v[24:25], v[32:33]
	v_add_f64_e64 v[32:33], v[18:19], -v[10:11]
	v_fma_f64 v[82:83], v[22:23], v[34:35], -v[20:21]
	scratch_load_b128 v[22:25], off, off offset:344 th:TH_LOAD_LU ; 16-byte Folded Reload
	v_add_f64_e32 v[32:33], v[28:29], v[32:33]
	s_wait_loadcnt_dscnt 0x5
	v_mul_f64_e32 v[20:21], v[24:25], v[38:39]
	s_delay_alu instid0(VALU_DEP_1) | instskip(SKIP_2) | instid1(VALU_DEP_2)
	v_fma_f64 v[34:35], v[22:23], v[36:37], v[20:21]
	v_mul_f64_e32 v[20:21], v[24:25], v[36:37]
	v_add_f64_e64 v[36:37], v[10:11], -v[18:19]
	v_fma_f64 v[84:85], v[22:23], v[38:39], -v[20:21]
	scratch_load_b128 v[22:25], off, off offset:444 th:TH_LOAD_LU ; 16-byte Folded Reload
	s_wait_loadcnt_dscnt 0x3
	v_mul_f64_e32 v[20:21], v[24:25], v[47:48]
	s_delay_alu instid0(VALU_DEP_1) | instskip(SKIP_1) | instid1(VALU_DEP_1)
	v_fma_f64 v[86:87], v[22:23], v[45:46], v[20:21]
	v_mul_f64_e32 v[20:21], v[24:25], v[45:46]
	v_fma_f64 v[45:46], v[22:23], v[47:48], -v[20:21]
	scratch_load_b128 v[22:25], off, off offset:460 th:TH_LOAD_LU ; 16-byte Folded Reload
	s_wait_loadcnt_dscnt 0x2
	v_mul_f64_e32 v[20:21], v[24:25], v[51:52]
	s_delay_alu instid0(VALU_DEP_1) | instskip(SKIP_1) | instid1(VALU_DEP_1)
	v_fma_f64 v[47:48], v[22:23], v[49:50], v[20:21]
	v_mul_f64_e32 v[20:21], v[24:25], v[49:50]
	v_fma_f64 v[49:50], v[22:23], v[51:52], -v[20:21]
	scratch_load_b128 v[22:25], off, off offset:480 th:TH_LOAD_LU ; 16-byte Folded Reload
	s_wait_loadcnt_dscnt 0x1
	v_mul_f64_e32 v[20:21], v[24:25], v[55:56]
	s_delay_alu instid0(VALU_DEP_1) | instskip(SKIP_1) | instid1(VALU_DEP_1)
	v_fma_f64 v[51:52], v[22:23], v[53:54], v[20:21]
	v_mul_f64_e32 v[20:21], v[24:25], v[53:54]
	v_fma_f64 v[53:54], v[22:23], v[55:56], -v[20:21]
	scratch_load_b128 v[22:25], off, off offset:496 th:TH_LOAD_LU ; 16-byte Folded Reload
	global_wb scope:SCOPE_SE
	s_wait_loadcnt_dscnt 0x0
	s_barrier_signal -1
	s_barrier_wait -1
	global_inv scope:SCOPE_SE
	v_mul_f64_e32 v[20:21], v[24:25], v[59:60]
	s_delay_alu instid0(VALU_DEP_1) | instskip(SKIP_1) | instid1(VALU_DEP_1)
	v_fma_f64 v[55:56], v[22:23], v[57:58], v[20:21]
	v_mul_f64_e32 v[20:21], v[24:25], v[57:58]
	v_fma_f64 v[57:58], v[22:23], v[59:60], -v[20:21]
	v_add_f64_e32 v[20:21], v[0:1], v[62:63]
	v_add_f64_e64 v[22:23], v[4:5], -v[64:65]
	s_delay_alu instid0(VALU_DEP_2) | instskip(NEXT) | instid1(VALU_DEP_1)
	v_add_f64_e32 v[20:21], v[20:21], v[6:7]
	v_add_f64_e32 v[20:21], v[20:21], v[10:11]
	s_delay_alu instid0(VALU_DEP_1) | instskip(SKIP_1) | instid1(VALU_DEP_1)
	v_add_f64_e32 v[24:25], v[20:21], v[18:19]
	v_add_f64_e32 v[20:21], v[6:7], v[10:11]
	v_fma_f64 v[20:21], v[20:21], -0.5, v[0:1]
	s_delay_alu instid0(VALU_DEP_1) | instskip(SKIP_1) | instid1(VALU_DEP_2)
	v_fma_f64 v[26:27], v[22:23], s[16:17], v[20:21]
	v_fma_f64 v[20:21], v[22:23], s[2:3], v[20:21]
	;; [unrolled: 1-line block ×3, first 2 shown]
	s_delay_alu instid0(VALU_DEP_2) | instskip(NEXT) | instid1(VALU_DEP_2)
	v_fma_f64 v[20:21], v[30:31], s[10:11], v[20:21]
	v_fma_f64 v[28:29], v[32:33], s[8:9], v[26:27]
	v_add_f64_e32 v[26:27], v[62:63], v[18:19]
	s_delay_alu instid0(VALU_DEP_3) | instskip(SKIP_4) | instid1(VALU_DEP_4)
	v_fma_f64 v[20:21], v[32:33], s[8:9], v[20:21]
	v_add_f64_e64 v[32:33], v[6:7], -v[62:63]
	v_add_f64_e64 v[18:19], v[62:63], -v[18:19]
	;; [unrolled: 1-line block ×3, first 2 shown]
	v_fma_f64 v[0:1], v[26:27], -0.5, v[0:1]
	v_add_f64_e32 v[32:33], v[32:33], v[36:37]
	s_delay_alu instid0(VALU_DEP_2) | instskip(SKIP_2) | instid1(VALU_DEP_3)
	v_fma_f64 v[26:27], v[30:31], s[2:3], v[0:1]
	v_fma_f64 v[0:1], v[30:31], s[16:17], v[0:1]
	v_add_f64_e64 v[30:31], v[64:65], -v[16:17]
	v_fma_f64 v[26:27], v[22:23], s[14:15], v[26:27]
	s_delay_alu instid0(VALU_DEP_3) | instskip(NEXT) | instid1(VALU_DEP_2)
	v_fma_f64 v[0:1], v[22:23], s[10:11], v[0:1]
	v_fma_f64 v[60:61], v[32:33], s[8:9], v[26:27]
	s_delay_alu instid0(VALU_DEP_2) | instskip(SKIP_1) | instid1(VALU_DEP_1)
	v_fma_f64 v[36:37], v[32:33], s[8:9], v[0:1]
	v_add_f64_e32 v[0:1], v[2:3], v[4:5]
	v_add_f64_e32 v[0:1], v[0:1], v[8:9]
	s_delay_alu instid0(VALU_DEP_1) | instskip(NEXT) | instid1(VALU_DEP_1)
	v_add_f64_e32 v[0:1], v[0:1], v[16:17]
	v_add_f64_e32 v[26:27], v[0:1], v[64:65]
	;; [unrolled: 1-line block ×3, first 2 shown]
	s_delay_alu instid0(VALU_DEP_1) | instskip(NEXT) | instid1(VALU_DEP_1)
	v_fma_f64 v[0:1], v[0:1], -0.5, v[2:3]
	v_fma_f64 v[22:23], v[18:19], s[2:3], v[0:1]
	v_fma_f64 v[0:1], v[18:19], s[16:17], v[0:1]
	s_delay_alu instid0(VALU_DEP_2) | instskip(SKIP_1) | instid1(VALU_DEP_3)
	v_fma_f64 v[10:11], v[6:7], s[10:11], v[22:23]
	v_add_f64_e64 v[22:23], v[4:5], -v[8:9]
	v_fma_f64 v[0:1], v[6:7], s[14:15], v[0:1]
	s_delay_alu instid0(VALU_DEP_2) | instskip(NEXT) | instid1(VALU_DEP_1)
	v_add_f64_e32 v[22:23], v[22:23], v[30:31]
	v_fma_f64 v[30:31], v[22:23], s[8:9], v[10:11]
	s_delay_alu instid0(VALU_DEP_3)
	v_fma_f64 v[22:23], v[22:23], s[8:9], v[0:1]
	v_add_f64_e32 v[0:1], v[4:5], v[64:65]
	v_add_f64_e64 v[4:5], v[8:9], -v[4:5]
	v_add_f64_e64 v[8:9], v[16:17], -v[64:65]
	;; [unrolled: 1-line block ×4, first 2 shown]
	v_fma_f64 v[0:1], v[0:1], -0.5, v[2:3]
	s_delay_alu instid0(VALU_DEP_4) | instskip(SKIP_1) | instid1(VALU_DEP_3)
	v_add_f64_e32 v[4:5], v[4:5], v[8:9]
	v_add_f64_e64 v[8:9], v[70:71], -v[76:77]
	v_fma_f64 v[2:3], v[6:7], s[16:17], v[0:1]
	v_fma_f64 v[0:1], v[6:7], s[2:3], v[0:1]
	v_add_f64_e64 v[6:7], v[78:79], -v[82:83]
	s_delay_alu instid0(VALU_DEP_4) | instskip(SKIP_4) | instid1(VALU_DEP_3)
	v_add_f64_e32 v[8:9], v[8:9], v[10:11]
	v_add_f64_e64 v[10:11], v[80:81], -v[34:35]
	v_fma_f64 v[2:3], v[18:19], s[10:11], v[2:3]
	v_fma_f64 v[0:1], v[18:19], s[14:15], v[0:1]
	v_add_f64_e64 v[18:19], v[51:52], -v[55:56]
	v_fma_f64 v[62:63], v[4:5], s[8:9], v[2:3]
	s_delay_alu instid0(VALU_DEP_3) | instskip(SKIP_2) | instid1(VALU_DEP_2)
	v_fma_f64 v[38:39], v[4:5], s[8:9], v[0:1]
	v_add_f64_e32 v[0:1], v[41:42], v[70:71]
	v_add_f64_e64 v[2:3], v[74:75], -v[84:85]
	v_add_f64_e32 v[0:1], v[0:1], v[76:77]
	s_delay_alu instid0(VALU_DEP_1) | instskip(NEXT) | instid1(VALU_DEP_1)
	v_add_f64_e32 v[0:1], v[0:1], v[80:81]
	v_add_f64_e32 v[64:65], v[0:1], v[34:35]
	;; [unrolled: 1-line block ×3, first 2 shown]
	s_delay_alu instid0(VALU_DEP_1) | instskip(NEXT) | instid1(VALU_DEP_1)
	v_fma_f64 v[0:1], v[0:1], -0.5, v[41:42]
	v_fma_f64 v[4:5], v[2:3], s[16:17], v[0:1]
	v_fma_f64 v[0:1], v[2:3], s[2:3], v[0:1]
	s_delay_alu instid0(VALU_DEP_2) | instskip(NEXT) | instid1(VALU_DEP_2)
	v_fma_f64 v[4:5], v[6:7], s[14:15], v[4:5]
	v_fma_f64 v[0:1], v[6:7], s[10:11], v[0:1]
	s_delay_alu instid0(VALU_DEP_2) | instskip(NEXT) | instid1(VALU_DEP_2)
	v_fma_f64 v[68:69], v[8:9], s[8:9], v[4:5]
	v_fma_f64 v[32:33], v[8:9], s[8:9], v[0:1]
	v_add_f64_e32 v[0:1], v[70:71], v[34:35]
	v_add_f64_e64 v[8:9], v[76:77], -v[70:71]
	s_delay_alu instid0(VALU_DEP_2) | instskip(NEXT) | instid1(VALU_DEP_2)
	v_fma_f64 v[0:1], v[0:1], -0.5, v[41:42]
	v_add_f64_e32 v[8:9], v[8:9], v[10:11]
	v_add_f64_e64 v[10:11], v[84:85], -v[82:83]
	s_delay_alu instid0(VALU_DEP_3) | instskip(SKIP_2) | instid1(VALU_DEP_3)
	v_fma_f64 v[4:5], v[6:7], s[2:3], v[0:1]
	v_fma_f64 v[0:1], v[6:7], s[16:17], v[0:1]
	v_add_f64_e64 v[6:7], v[76:77], -v[80:81]
	v_fma_f64 v[4:5], v[2:3], s[14:15], v[4:5]
	s_delay_alu instid0(VALU_DEP_3) | instskip(SKIP_1) | instid1(VALU_DEP_3)
	v_fma_f64 v[0:1], v[2:3], s[10:11], v[0:1]
	v_add_f64_e64 v[2:3], v[70:71], -v[34:35]
	v_fma_f64 v[41:42], v[8:9], s[8:9], v[4:5]
	s_delay_alu instid0(VALU_DEP_3) | instskip(SKIP_2) | instid1(VALU_DEP_2)
	v_fma_f64 v[72:73], v[8:9], s[8:9], v[0:1]
	v_add_f64_e32 v[0:1], v[43:44], v[74:75]
	v_add_f64_e64 v[8:9], v[74:75], -v[78:79]
	v_add_f64_e32 v[0:1], v[0:1], v[78:79]
	s_delay_alu instid0(VALU_DEP_2) | instskip(SKIP_1) | instid1(VALU_DEP_3)
	v_add_f64_e32 v[8:9], v[8:9], v[10:11]
	v_add_f64_e64 v[10:11], v[82:83], -v[84:85]
	v_add_f64_e32 v[0:1], v[0:1], v[82:83]
	s_delay_alu instid0(VALU_DEP_1) | instskip(SKIP_1) | instid1(VALU_DEP_1)
	v_add_f64_e32 v[66:67], v[0:1], v[84:85]
	v_add_f64_e32 v[0:1], v[78:79], v[82:83]
	v_fma_f64 v[0:1], v[0:1], -0.5, v[43:44]
	s_delay_alu instid0(VALU_DEP_1) | instskip(SKIP_1) | instid1(VALU_DEP_2)
	v_fma_f64 v[4:5], v[2:3], s[2:3], v[0:1]
	v_fma_f64 v[0:1], v[2:3], s[16:17], v[0:1]
	;; [unrolled: 1-line block ×3, first 2 shown]
	s_delay_alu instid0(VALU_DEP_2) | instskip(NEXT) | instid1(VALU_DEP_2)
	v_fma_f64 v[0:1], v[6:7], s[14:15], v[0:1]
	v_fma_f64 v[70:71], v[8:9], s[8:9], v[4:5]
	s_delay_alu instid0(VALU_DEP_2) | instskip(SKIP_2) | instid1(VALU_DEP_2)
	v_fma_f64 v[34:35], v[8:9], s[8:9], v[0:1]
	v_add_f64_e32 v[0:1], v[74:75], v[84:85]
	v_add_f64_e64 v[8:9], v[78:79], -v[74:75]
	v_fma_f64 v[0:1], v[0:1], -0.5, v[43:44]
	s_delay_alu instid0(VALU_DEP_2) | instskip(SKIP_1) | instid1(VALU_DEP_3)
	v_add_f64_e32 v[8:9], v[8:9], v[10:11]
	v_add_f64_e64 v[10:11], v[49:50], -v[53:54]
	v_fma_f64 v[4:5], v[6:7], s[16:17], v[0:1]
	v_fma_f64 v[0:1], v[6:7], s[2:3], v[0:1]
	s_delay_alu instid0(VALU_DEP_2) | instskip(NEXT) | instid1(VALU_DEP_2)
	v_fma_f64 v[4:5], v[2:3], s[10:11], v[4:5]
	v_fma_f64 v[0:1], v[2:3], s[14:15], v[0:1]
	v_add_f64_e64 v[2:3], v[45:46], -v[57:58]
	s_delay_alu instid0(VALU_DEP_3) | instskip(NEXT) | instid1(VALU_DEP_3)
	v_fma_f64 v[43:44], v[8:9], s[8:9], v[4:5]
	v_fma_f64 v[74:75], v[8:9], s[8:9], v[0:1]
	v_add_f64_e32 v[0:1], v[12:13], v[86:87]
	v_add_f64_e64 v[8:9], v[86:87], -v[47:48]
	s_delay_alu instid0(VALU_DEP_2) | instskip(NEXT) | instid1(VALU_DEP_2)
	v_add_f64_e32 v[0:1], v[0:1], v[47:48]
	v_add_f64_e32 v[16:17], v[8:9], v[16:17]
	s_delay_alu instid0(VALU_DEP_2) | instskip(NEXT) | instid1(VALU_DEP_1)
	v_add_f64_e32 v[0:1], v[0:1], v[51:52]
	v_add_f64_e32 v[4:5], v[0:1], v[55:56]
	;; [unrolled: 1-line block ×3, first 2 shown]
	s_delay_alu instid0(VALU_DEP_1) | instskip(NEXT) | instid1(VALU_DEP_1)
	v_fma_f64 v[0:1], v[0:1], -0.5, v[12:13]
	v_fma_f64 v[6:7], v[2:3], s[16:17], v[0:1]
	v_fma_f64 v[0:1], v[2:3], s[2:3], v[0:1]
	s_delay_alu instid0(VALU_DEP_2) | instskip(NEXT) | instid1(VALU_DEP_2)
	v_fma_f64 v[6:7], v[10:11], s[14:15], v[6:7]
	v_fma_f64 v[0:1], v[10:11], s[10:11], v[0:1]
	s_delay_alu instid0(VALU_DEP_2) | instskip(SKIP_1) | instid1(VALU_DEP_3)
	v_fma_f64 v[8:9], v[16:17], s[8:9], v[6:7]
	v_add_f64_e32 v[6:7], v[86:87], v[55:56]
	v_fma_f64 v[0:1], v[16:17], s[8:9], v[0:1]
	v_add_f64_e64 v[16:17], v[47:48], -v[86:87]
	v_add_f64_e64 v[55:56], v[86:87], -v[55:56]
	v_add_f64_e64 v[47:48], v[47:48], -v[51:52]
	v_add_f64_e64 v[51:52], v[57:58], -v[53:54]
	v_fma_f64 v[6:7], v[6:7], -0.5, v[12:13]
	v_add_f64_e32 v[18:19], v[16:17], v[18:19]
	s_delay_alu instid0(VALU_DEP_2) | instskip(SKIP_1) | instid1(VALU_DEP_2)
	v_fma_f64 v[12:13], v[10:11], s[2:3], v[6:7]
	v_fma_f64 v[6:7], v[10:11], s[16:17], v[6:7]
	;; [unrolled: 1-line block ×3, first 2 shown]
	s_delay_alu instid0(VALU_DEP_2) | instskip(NEXT) | instid1(VALU_DEP_2)
	v_fma_f64 v[2:3], v[2:3], s[10:11], v[6:7]
	v_fma_f64 v[16:17], v[18:19], s[8:9], v[12:13]
	s_delay_alu instid0(VALU_DEP_2) | instskip(SKIP_2) | instid1(VALU_DEP_2)
	v_fma_f64 v[12:13], v[18:19], s[8:9], v[2:3]
	v_add_f64_e32 v[2:3], v[14:15], v[45:46]
	v_add_f64_e64 v[18:19], v[45:46], -v[49:50]
	v_add_f64_e32 v[2:3], v[2:3], v[49:50]
	s_delay_alu instid0(VALU_DEP_2) | instskip(NEXT) | instid1(VALU_DEP_2)
	v_add_f64_e32 v[18:19], v[18:19], v[51:52]
	v_add_f64_e32 v[2:3], v[2:3], v[53:54]
	s_delay_alu instid0(VALU_DEP_1) | instskip(SKIP_1) | instid1(VALU_DEP_1)
	v_add_f64_e32 v[6:7], v[2:3], v[57:58]
	v_add_f64_e32 v[2:3], v[49:50], v[53:54]
	v_fma_f64 v[2:3], v[2:3], -0.5, v[14:15]
	s_delay_alu instid0(VALU_DEP_1) | instskip(SKIP_1) | instid1(VALU_DEP_2)
	v_fma_f64 v[10:11], v[55:56], s[2:3], v[2:3]
	v_fma_f64 v[2:3], v[55:56], s[16:17], v[2:3]
	;; [unrolled: 1-line block ×3, first 2 shown]
	s_delay_alu instid0(VALU_DEP_2) | instskip(NEXT) | instid1(VALU_DEP_2)
	v_fma_f64 v[2:3], v[47:48], s[14:15], v[2:3]
	v_fma_f64 v[10:11], v[18:19], s[8:9], v[10:11]
	s_delay_alu instid0(VALU_DEP_2) | instskip(SKIP_3) | instid1(VALU_DEP_3)
	v_fma_f64 v[2:3], v[18:19], s[8:9], v[2:3]
	v_add_f64_e32 v[18:19], v[45:46], v[57:58]
	v_add_f64_e64 v[45:46], v[49:50], -v[45:46]
	v_add_f64_e64 v[49:50], v[53:54], -v[57:58]
	v_fma_f64 v[14:15], v[18:19], -0.5, v[14:15]
	s_delay_alu instid0(VALU_DEP_2) | instskip(NEXT) | instid1(VALU_DEP_2)
	v_add_f64_e32 v[45:46], v[45:46], v[49:50]
	v_fma_f64 v[18:19], v[47:48], s[16:17], v[14:15]
	v_fma_f64 v[14:15], v[47:48], s[2:3], v[14:15]
	s_delay_alu instid0(VALU_DEP_2) | instskip(NEXT) | instid1(VALU_DEP_2)
	v_fma_f64 v[18:19], v[55:56], s[10:11], v[18:19]
	v_fma_f64 v[14:15], v[55:56], s[14:15], v[14:15]
	s_delay_alu instid0(VALU_DEP_2) | instskip(NEXT) | instid1(VALU_DEP_2)
	v_fma_f64 v[18:19], v[45:46], s[8:9], v[18:19]
	v_fma_f64 v[14:15], v[45:46], s[8:9], v[14:15]
	scratch_load_b32 v45, off, off offset:512 th:TH_LOAD_LU ; 4-byte Folded Reload
	s_wait_loadcnt 0x0
	ds_store_b128 v45, v[24:27]
	ds_store_b128 v45, v[28:31] offset:80
	ds_store_b128 v45, v[60:63] offset:160
	ds_store_b128 v45, v[36:39] offset:240
	ds_store_b128 v45, v[20:23] offset:320
	scratch_load_b32 v20, off, off offset:476 th:TH_LOAD_LU ; 4-byte Folded Reload
	s_wait_loadcnt 0x0
	ds_store_b128 v20, v[64:67]
	ds_store_b128 v20, v[68:71] offset:80
	ds_store_b128 v20, v[41:44] offset:160
	ds_store_b128 v20, v[72:75] offset:240
	ds_store_b128 v20, v[32:35] offset:320
	;; [unrolled: 7-line block ×3, first 2 shown]
	global_wb scope:SCOPE_SE
	s_wait_dscnt 0x0
	s_barrier_signal -1
	s_barrier_wait -1
	global_inv scope:SCOPE_SE
	ds_load_b128 v[12:15], v40
	ds_load_b128 v[0:3], v40 offset:10800
	ds_load_b128 v[4:7], v40 offset:21600
	;; [unrolled: 1-line block ×14, first 2 shown]
	scratch_load_b128 v[65:68], off, off offset:428 th:TH_LOAD_LU ; 16-byte Folded Reload
	s_wait_dscnt 0xd
	v_mul_f64_e32 v[61:62], v[122:123], v[2:3]
	s_delay_alu instid0(VALU_DEP_1) | instskip(SKIP_1) | instid1(VALU_DEP_1)
	v_fma_f64 v[61:62], v[120:121], v[0:1], v[61:62]
	v_mul_f64_e32 v[0:1], v[122:123], v[0:1]
	v_fma_f64 v[63:64], v[120:121], v[2:3], -v[0:1]
	s_wait_loadcnt_dscnt 0xc
	v_mul_f64_e32 v[0:1], v[67:68], v[6:7]
	s_delay_alu instid0(VALU_DEP_1) | instskip(SKIP_1) | instid1(VALU_DEP_1)
	v_fma_f64 v[2:3], v[65:66], v[4:5], v[0:1]
	v_mul_f64_e32 v[0:1], v[67:68], v[4:5]
	v_fma_f64 v[65:66], v[65:66], v[6:7], -v[0:1]
	scratch_load_b128 v[4:7], off, off offset:412 th:TH_LOAD_LU ; 16-byte Folded Reload
	s_wait_loadcnt_dscnt 0xb
	v_mul_f64_e32 v[0:1], v[6:7], v[10:11]
	s_delay_alu instid0(VALU_DEP_1) | instskip(SKIP_1) | instid1(VALU_DEP_1)
	v_fma_f64 v[67:68], v[4:5], v[8:9], v[0:1]
	v_mul_f64_e32 v[0:1], v[6:7], v[8:9]
	v_fma_f64 v[69:70], v[4:5], v[10:11], -v[0:1]
	scratch_load_b128 v[4:7], off, off offset:396 th:TH_LOAD_LU ; 16-byte Folded Reload
	global_wb scope:SCOPE_SE
	s_wait_loadcnt_dscnt 0x0
	s_barrier_signal -1
	s_barrier_wait -1
	global_inv scope:SCOPE_SE
	v_mul_f64_e32 v[0:1], v[6:7], v[18:19]
	s_delay_alu instid0(VALU_DEP_1) | instskip(SKIP_2) | instid1(VALU_DEP_2)
	v_fma_f64 v[10:11], v[4:5], v[16:17], v[0:1]
	v_mul_f64_e32 v[0:1], v[6:7], v[16:17]
	v_add_f64_e64 v[16:17], v[61:62], -v[2:3]
	v_fma_f64 v[18:19], v[4:5], v[18:19], -v[0:1]
	v_mul_f64_e32 v[0:1], v[146:147], v[26:27]
	s_delay_alu instid0(VALU_DEP_2) | instskip(NEXT) | instid1(VALU_DEP_2)
	v_add_f64_e64 v[6:7], v[63:64], -v[18:19]
	v_fma_f64 v[71:72], v[144:145], v[24:25], v[0:1]
	v_mul_f64_e32 v[0:1], v[146:147], v[24:25]
	s_delay_alu instid0(VALU_DEP_1) | instskip(SKIP_1) | instid1(VALU_DEP_1)
	v_fma_f64 v[24:25], v[144:145], v[26:27], -v[0:1]
	v_mul_f64_e32 v[0:1], v[142:143], v[30:31]
	v_fma_f64 v[26:27], v[140:141], v[28:29], v[0:1]
	v_mul_f64_e32 v[0:1], v[142:143], v[28:29]
	s_delay_alu instid0(VALU_DEP_1) | instskip(SKIP_1) | instid1(VALU_DEP_1)
	v_fma_f64 v[28:29], v[140:141], v[30:31], -v[0:1]
	v_mul_f64_e32 v[0:1], v[134:135], v[38:39]
	;; [unrolled: 5-line block ×3, first 2 shown]
	v_fma_f64 v[38:39], v[128:129], v[41:42], v[0:1]
	v_mul_f64_e32 v[0:1], v[130:131], v[41:42]
	s_delay_alu instid0(VALU_DEP_1) | instskip(SKIP_2) | instid1(VALU_DEP_2)
	v_fma_f64 v[41:42], v[128:129], v[43:44], -v[0:1]
	v_mul_f64_e32 v[0:1], v[162:163], v[47:48]
	v_add_f64_e64 v[43:44], v[65:66], -v[69:70]
	v_fma_f64 v[73:74], v[160:161], v[45:46], v[0:1]
	v_mul_f64_e32 v[0:1], v[162:163], v[45:46]
	v_add_f64_e64 v[45:46], v[10:11], -v[67:68]
	s_delay_alu instid0(VALU_DEP_2) | instskip(SKIP_1) | instid1(VALU_DEP_3)
	v_fma_f64 v[75:76], v[160:161], v[47:48], -v[0:1]
	v_mul_f64_e32 v[0:1], v[158:159], v[51:52]
	v_add_f64_e32 v[16:17], v[16:17], v[45:46]
	v_add_f64_e64 v[45:46], v[2:3], -v[61:62]
	v_add_f64_e64 v[47:48], v[67:68], -v[10:11]
	s_delay_alu instid0(VALU_DEP_4) | instskip(SKIP_2) | instid1(VALU_DEP_4)
	v_fma_f64 v[77:78], v[156:157], v[49:50], v[0:1]
	v_mul_f64_e32 v[0:1], v[158:159], v[49:50]
	v_add_f64_e64 v[49:50], v[18:19], -v[69:70]
	v_add_f64_e32 v[45:46], v[45:46], v[47:48]
	v_add_f64_e64 v[47:48], v[2:3], -v[67:68]
	s_delay_alu instid0(VALU_DEP_4) | instskip(SKIP_1) | instid1(VALU_DEP_1)
	v_fma_f64 v[79:80], v[156:157], v[51:52], -v[0:1]
	v_mul_f64_e32 v[0:1], v[154:155], v[55:56]
	v_fma_f64 v[81:82], v[152:153], v[53:54], v[0:1]
	v_mul_f64_e32 v[0:1], v[154:155], v[53:54]
	v_add_f64_e64 v[52:53], v[28:29], -v[36:37]
	s_delay_alu instid0(VALU_DEP_2) | instskip(SKIP_2) | instid1(VALU_DEP_2)
	v_fma_f64 v[83:84], v[152:153], v[55:56], -v[0:1]
	v_mul_f64_e32 v[0:1], v[150:151], v[59:60]
	v_add_f64_e64 v[54:55], v[71:72], -v[26:27]
	v_fma_f64 v[85:86], v[148:149], v[57:58], v[0:1]
	v_mul_f64_e32 v[0:1], v[150:151], v[57:58]
	v_add_f64_e64 v[56:57], v[38:39], -v[30:31]
	s_delay_alu instid0(VALU_DEP_2) | instskip(SKIP_1) | instid1(VALU_DEP_3)
	v_fma_f64 v[87:88], v[148:149], v[59:60], -v[0:1]
	v_add_f64_e32 v[0:1], v[12:13], v[61:62]
	v_add_f64_e32 v[54:55], v[54:55], v[56:57]
	v_add_f64_e64 v[56:57], v[30:31], -v[38:39]
	s_delay_alu instid0(VALU_DEP_3) | instskip(NEXT) | instid1(VALU_DEP_1)
	v_add_f64_e32 v[0:1], v[0:1], v[2:3]
	v_add_f64_e32 v[0:1], v[0:1], v[67:68]
	s_delay_alu instid0(VALU_DEP_1) | instskip(SKIP_1) | instid1(VALU_DEP_1)
	v_add_f64_e32 v[4:5], v[0:1], v[10:11]
	v_add_f64_e32 v[0:1], v[2:3], v[67:68]
	v_fma_f64 v[0:1], v[0:1], -0.5, v[12:13]
	s_delay_alu instid0(VALU_DEP_1) | instskip(SKIP_1) | instid1(VALU_DEP_2)
	v_fma_f64 v[8:9], v[6:7], s[16:17], v[0:1]
	v_fma_f64 v[0:1], v[6:7], s[2:3], v[0:1]
	;; [unrolled: 1-line block ×3, first 2 shown]
	s_delay_alu instid0(VALU_DEP_2) | instskip(NEXT) | instid1(VALU_DEP_2)
	v_fma_f64 v[0:1], v[43:44], s[10:11], v[0:1]
	v_fma_f64 v[8:9], v[16:17], s[8:9], v[8:9]
	s_delay_alu instid0(VALU_DEP_2) | instskip(SKIP_1) | instid1(VALU_DEP_1)
	v_fma_f64 v[0:1], v[16:17], s[8:9], v[0:1]
	v_add_f64_e32 v[16:17], v[61:62], v[10:11]
	v_fma_f64 v[12:13], v[16:17], -0.5, v[12:13]
	s_delay_alu instid0(VALU_DEP_1) | instskip(SKIP_2) | instid1(VALU_DEP_3)
	v_fma_f64 v[16:17], v[43:44], s[2:3], v[12:13]
	v_fma_f64 v[12:13], v[43:44], s[16:17], v[12:13]
	v_add_f64_e32 v[43:44], v[65:66], v[69:70]
	v_fma_f64 v[16:17], v[6:7], s[14:15], v[16:17]
	s_delay_alu instid0(VALU_DEP_3) | instskip(NEXT) | instid1(VALU_DEP_3)
	v_fma_f64 v[6:7], v[6:7], s[10:11], v[12:13]
	v_fma_f64 v[43:44], v[43:44], -0.5, v[14:15]
	s_delay_alu instid0(VALU_DEP_3) | instskip(NEXT) | instid1(VALU_DEP_3)
	v_fma_f64 v[16:17], v[45:46], s[8:9], v[16:17]
	v_fma_f64 v[12:13], v[45:46], s[8:9], v[6:7]
	v_add_f64_e64 v[45:46], v[61:62], -v[10:11]
	v_add_f64_e32 v[6:7], v[14:15], v[63:64]
	s_delay_alu instid0(VALU_DEP_2) | instskip(NEXT) | instid1(VALU_DEP_2)
	v_fma_f64 v[10:11], v[45:46], s[2:3], v[43:44]
	v_add_f64_e32 v[6:7], v[6:7], v[65:66]
	s_delay_alu instid0(VALU_DEP_2) | instskip(SKIP_1) | instid1(VALU_DEP_3)
	v_fma_f64 v[2:3], v[47:48], s[10:11], v[10:11]
	v_add_f64_e64 v[10:11], v[63:64], -v[65:66]
	v_add_f64_e32 v[6:7], v[6:7], v[69:70]
	s_delay_alu instid0(VALU_DEP_2) | instskip(NEXT) | instid1(VALU_DEP_2)
	v_add_f64_e32 v[49:50], v[10:11], v[49:50]
	v_add_f64_e32 v[6:7], v[6:7], v[18:19]
	s_delay_alu instid0(VALU_DEP_2) | instskip(SKIP_4) | instid1(VALU_DEP_4)
	v_fma_f64 v[10:11], v[49:50], s[8:9], v[2:3]
	v_fma_f64 v[2:3], v[45:46], s[16:17], v[43:44]
	v_add_f64_e32 v[43:44], v[63:64], v[18:19]
	v_add_f64_e64 v[18:19], v[69:70], -v[18:19]
	v_add_f64_e64 v[68:69], v[83:84], -v[87:88]
	v_fma_f64 v[2:3], v[47:48], s[14:15], v[2:3]
	s_delay_alu instid0(VALU_DEP_4) | instskip(NEXT) | instid1(VALU_DEP_2)
	v_fma_f64 v[14:15], v[43:44], -0.5, v[14:15]
	v_fma_f64 v[2:3], v[49:50], s[8:9], v[2:3]
	s_delay_alu instid0(VALU_DEP_2)
	v_fma_f64 v[43:44], v[47:48], s[16:17], v[14:15]
	v_add_f64_e64 v[49:50], v[65:66], -v[63:64]
	v_fma_f64 v[14:15], v[47:48], s[2:3], v[14:15]
	v_add_f64_e64 v[64:65], v[77:78], -v[81:82]
	v_add_f64_e64 v[66:67], v[87:88], -v[83:84]
	v_fma_f64 v[43:44], v[45:46], s[10:11], v[43:44]
	v_add_f64_e32 v[49:50], v[49:50], v[18:19]
	v_fma_f64 v[14:15], v[45:46], s[14:15], v[14:15]
	v_add_f64_e32 v[46:47], v[26:27], v[30:31]
	s_delay_alu instid0(VALU_DEP_3) | instskip(NEXT) | instid1(VALU_DEP_3)
	v_fma_f64 v[18:19], v[49:50], s[8:9], v[43:44]
	v_fma_f64 v[14:15], v[49:50], s[8:9], v[14:15]
	s_delay_alu instid0(VALU_DEP_3) | instskip(SKIP_2) | instid1(VALU_DEP_2)
	v_fma_f64 v[46:47], v[46:47], -0.5, v[20:21]
	v_add_f64_e64 v[50:51], v[24:25], -v[41:42]
	v_add_f64_e32 v[43:44], v[20:21], v[71:72]
	v_fma_f64 v[48:49], v[50:51], s[16:17], v[46:47]
	v_fma_f64 v[46:47], v[50:51], s[2:3], v[46:47]
	s_delay_alu instid0(VALU_DEP_3) | instskip(NEXT) | instid1(VALU_DEP_3)
	v_add_f64_e32 v[43:44], v[43:44], v[26:27]
	v_fma_f64 v[48:49], v[52:53], s[14:15], v[48:49]
	s_delay_alu instid0(VALU_DEP_3) | instskip(NEXT) | instid1(VALU_DEP_3)
	v_fma_f64 v[46:47], v[52:53], s[10:11], v[46:47]
	v_add_f64_e32 v[43:44], v[43:44], v[30:31]
	s_delay_alu instid0(VALU_DEP_3) | instskip(NEXT) | instid1(VALU_DEP_3)
	v_fma_f64 v[48:49], v[54:55], s[8:9], v[48:49]
	v_fma_f64 v[60:61], v[54:55], s[8:9], v[46:47]
	v_add_f64_e32 v[46:47], v[71:72], v[38:39]
	v_add_f64_e64 v[54:55], v[26:27], -v[71:72]
	v_add_f64_e32 v[44:45], v[43:44], v[38:39]
	v_add_f64_e64 v[38:39], v[71:72], -v[38:39]
	v_add_f64_e64 v[26:27], v[26:27], -v[30:31]
	v_fma_f64 v[20:21], v[46:47], -0.5, v[20:21]
	v_add_f64_e32 v[54:55], v[54:55], v[56:57]
	s_delay_alu instid0(VALU_DEP_2) | instskip(SKIP_1) | instid1(VALU_DEP_2)
	v_fma_f64 v[46:47], v[52:53], s[2:3], v[20:21]
	v_fma_f64 v[20:21], v[52:53], s[16:17], v[20:21]
	;; [unrolled: 1-line block ×3, first 2 shown]
	s_delay_alu instid0(VALU_DEP_2) | instskip(NEXT) | instid1(VALU_DEP_2)
	v_fma_f64 v[20:21], v[50:51], s[10:11], v[20:21]
	v_fma_f64 v[56:57], v[54:55], s[8:9], v[46:47]
	s_delay_alu instid0(VALU_DEP_2) | instskip(SKIP_2) | instid1(VALU_DEP_2)
	v_fma_f64 v[52:53], v[54:55], s[8:9], v[20:21]
	v_add_f64_e32 v[20:21], v[22:23], v[24:25]
	v_add_f64_e64 v[54:55], v[41:42], -v[36:37]
	v_add_f64_e32 v[20:21], v[20:21], v[28:29]
	s_delay_alu instid0(VALU_DEP_1) | instskip(NEXT) | instid1(VALU_DEP_1)
	v_add_f64_e32 v[20:21], v[20:21], v[36:37]
	v_add_f64_e32 v[46:47], v[20:21], v[41:42]
	;; [unrolled: 1-line block ×3, first 2 shown]
	s_delay_alu instid0(VALU_DEP_1) | instskip(NEXT) | instid1(VALU_DEP_1)
	v_fma_f64 v[20:21], v[20:21], -0.5, v[22:23]
	v_fma_f64 v[50:51], v[38:39], s[2:3], v[20:21]
	v_fma_f64 v[20:21], v[38:39], s[16:17], v[20:21]
	s_delay_alu instid0(VALU_DEP_2) | instskip(SKIP_1) | instid1(VALU_DEP_3)
	v_fma_f64 v[30:31], v[26:27], s[10:11], v[50:51]
	v_add_f64_e64 v[50:51], v[24:25], -v[28:29]
	v_fma_f64 v[20:21], v[26:27], s[14:15], v[20:21]
	s_delay_alu instid0(VALU_DEP_2) | instskip(NEXT) | instid1(VALU_DEP_1)
	v_add_f64_e32 v[54:55], v[50:51], v[54:55]
	v_fma_f64 v[62:63], v[54:55], s[8:9], v[20:21]
	v_add_f64_e32 v[20:21], v[24:25], v[41:42]
	v_add_f64_e64 v[24:25], v[28:29], -v[24:25]
	v_add_f64_e64 v[28:29], v[36:37], -v[41:42]
	v_fma_f64 v[50:51], v[54:55], s[8:9], v[30:31]
	v_add_f64_e64 v[30:31], v[79:80], -v[83:84]
	v_add_f64_e64 v[36:37], v[85:86], -v[81:82]
	;; [unrolled: 1-line block ×3, first 2 shown]
	v_fma_f64 v[20:21], v[20:21], -0.5, v[22:23]
	v_add_f64_e32 v[24:25], v[24:25], v[28:29]
	v_add_f64_e64 v[28:29], v[73:74], -v[77:78]
	s_delay_alu instid0(VALU_DEP_3) | instskip(SKIP_1) | instid1(VALU_DEP_3)
	v_fma_f64 v[22:23], v[26:27], s[16:17], v[20:21]
	v_fma_f64 v[20:21], v[26:27], s[2:3], v[20:21]
	v_add_f64_e32 v[36:37], v[28:29], v[36:37]
	s_delay_alu instid0(VALU_DEP_3) | instskip(NEXT) | instid1(VALU_DEP_3)
	v_fma_f64 v[22:23], v[38:39], s[10:11], v[22:23]
	v_fma_f64 v[20:21], v[38:39], s[14:15], v[20:21]
	v_add_f64_e64 v[38:39], v[81:82], -v[85:86]
	s_delay_alu instid0(VALU_DEP_3) | instskip(NEXT) | instid1(VALU_DEP_3)
	v_fma_f64 v[58:59], v[24:25], s[8:9], v[22:23]
	v_fma_f64 v[54:55], v[24:25], s[8:9], v[20:21]
	v_add_f64_e32 v[20:21], v[32:33], v[73:74]
	v_add_f64_e64 v[22:23], v[75:76], -v[87:88]
	s_delay_alu instid0(VALU_DEP_2) | instskip(NEXT) | instid1(VALU_DEP_1)
	v_add_f64_e32 v[20:21], v[20:21], v[77:78]
	v_add_f64_e32 v[20:21], v[20:21], v[81:82]
	s_delay_alu instid0(VALU_DEP_1) | instskip(SKIP_1) | instid1(VALU_DEP_1)
	v_add_f64_e32 v[24:25], v[20:21], v[85:86]
	v_add_f64_e32 v[20:21], v[77:78], v[81:82]
	v_fma_f64 v[20:21], v[20:21], -0.5, v[32:33]
	s_delay_alu instid0(VALU_DEP_1) | instskip(SKIP_1) | instid1(VALU_DEP_2)
	v_fma_f64 v[26:27], v[22:23], s[16:17], v[20:21]
	v_fma_f64 v[20:21], v[22:23], s[2:3], v[20:21]
	;; [unrolled: 1-line block ×3, first 2 shown]
	s_delay_alu instid0(VALU_DEP_2) | instskip(NEXT) | instid1(VALU_DEP_2)
	v_fma_f64 v[20:21], v[30:31], s[10:11], v[20:21]
	v_fma_f64 v[28:29], v[36:37], s[8:9], v[26:27]
	v_add_f64_e32 v[26:27], v[73:74], v[85:86]
	s_delay_alu instid0(VALU_DEP_3) | instskip(SKIP_1) | instid1(VALU_DEP_3)
	v_fma_f64 v[20:21], v[36:37], s[8:9], v[20:21]
	v_add_f64_e64 v[36:37], v[77:78], -v[73:74]
	v_fma_f64 v[26:27], v[26:27], -0.5, v[32:33]
	s_delay_alu instid0(VALU_DEP_2) | instskip(NEXT) | instid1(VALU_DEP_2)
	v_add_f64_e32 v[38:39], v[36:37], v[38:39]
	v_fma_f64 v[32:33], v[30:31], s[2:3], v[26:27]
	v_fma_f64 v[26:27], v[30:31], s[16:17], v[26:27]
	s_delay_alu instid0(VALU_DEP_2) | instskip(NEXT) | instid1(VALU_DEP_2)
	v_fma_f64 v[32:33], v[22:23], s[14:15], v[32:33]
	v_fma_f64 v[22:23], v[22:23], s[10:11], v[26:27]
	s_delay_alu instid0(VALU_DEP_2) | instskip(NEXT) | instid1(VALU_DEP_2)
	v_fma_f64 v[36:37], v[38:39], s[8:9], v[32:33]
	v_fma_f64 v[32:33], v[38:39], s[8:9], v[22:23]
	v_add_f64_e32 v[22:23], v[34:35], v[75:76]
	v_add_f64_e64 v[38:39], v[75:76], -v[79:80]
	s_delay_alu instid0(VALU_DEP_2) | instskip(NEXT) | instid1(VALU_DEP_2)
	v_add_f64_e32 v[22:23], v[22:23], v[79:80]
	v_add_f64_e32 v[38:39], v[38:39], v[66:67]
	v_add_f64_e64 v[66:67], v[79:80], -v[75:76]
	s_delay_alu instid0(VALU_DEP_3) | instskip(NEXT) | instid1(VALU_DEP_2)
	v_add_f64_e32 v[22:23], v[22:23], v[83:84]
	v_add_f64_e32 v[66:67], v[66:67], v[68:69]
	s_delay_alu instid0(VALU_DEP_2) | instskip(SKIP_1) | instid1(VALU_DEP_1)
	v_add_f64_e32 v[26:27], v[22:23], v[87:88]
	v_add_f64_e32 v[22:23], v[79:80], v[83:84]
	v_fma_f64 v[22:23], v[22:23], -0.5, v[34:35]
	s_delay_alu instid0(VALU_DEP_1) | instskip(SKIP_1) | instid1(VALU_DEP_2)
	v_fma_f64 v[30:31], v[41:42], s[2:3], v[22:23]
	v_fma_f64 v[22:23], v[41:42], s[16:17], v[22:23]
	;; [unrolled: 1-line block ×3, first 2 shown]
	s_delay_alu instid0(VALU_DEP_2) | instskip(NEXT) | instid1(VALU_DEP_2)
	v_fma_f64 v[22:23], v[64:65], s[14:15], v[22:23]
	v_fma_f64 v[30:31], v[38:39], s[8:9], v[30:31]
	s_delay_alu instid0(VALU_DEP_2) | instskip(SKIP_1) | instid1(VALU_DEP_1)
	v_fma_f64 v[22:23], v[38:39], s[8:9], v[22:23]
	v_add_f64_e32 v[38:39], v[75:76], v[87:88]
	v_fma_f64 v[34:35], v[38:39], -0.5, v[34:35]
	s_delay_alu instid0(VALU_DEP_1) | instskip(SKIP_3) | instid1(VALU_DEP_2)
	v_fma_f64 v[38:39], v[64:65], s[16:17], v[34:35]
	v_fma_f64 v[34:35], v[64:65], s[2:3], v[34:35]
	s_mov_b32 s2, 0xe70b7421
	s_mov_b32 s3, 0x3f336b06
	v_fma_f64 v[38:39], v[41:42], s[10:11], v[38:39]
	s_delay_alu instid0(VALU_DEP_2) | instskip(NEXT) | instid1(VALU_DEP_2)
	v_fma_f64 v[34:35], v[41:42], s[14:15], v[34:35]
	v_fma_f64 v[38:39], v[66:67], s[8:9], v[38:39]
	s_delay_alu instid0(VALU_DEP_2)
	v_fma_f64 v[34:35], v[66:67], s[8:9], v[34:35]
	ds_store_b128 v119, v[4:7]
	ds_store_b128 v119, v[8:11] offset:400
	ds_store_b128 v119, v[16:19] offset:800
	ds_store_b128 v119, v[12:15] offset:1200
	ds_store_b128 v119, v[0:3] offset:1600
	ds_store_b128 v118, v[44:47]
	ds_store_b128 v118, v[48:51] offset:400
	ds_store_b128 v118, v[56:59] offset:800
	ds_store_b128 v118, v[52:55] offset:1200
	ds_store_b128 v118, v[60:63] offset:1600
	;; [unrolled: 5-line block ×3, first 2 shown]
	global_wb scope:SCOPE_SE
	s_wait_dscnt 0x0
	s_barrier_signal -1
	s_barrier_wait -1
	global_inv scope:SCOPE_SE
	ds_load_b128 v[0:3], v40
	ds_load_b128 v[4:7], v40 offset:18000
	ds_load_b128 v[8:11], v40 offset:36000
	;; [unrolled: 1-line block ×14, first 2 shown]
	global_wb scope:SCOPE_SE
	s_wait_dscnt 0x0
	s_barrier_signal -1
	s_barrier_wait -1
	global_inv scope:SCOPE_SE
	v_mul_f64_e32 v[61:62], v[138:139], v[6:7]
	s_delay_alu instid0(VALU_DEP_1) | instskip(SKIP_1) | instid1(VALU_DEP_1)
	v_fma_f64 v[61:62], v[136:137], v[4:5], v[61:62]
	v_mul_f64_e32 v[4:5], v[138:139], v[4:5]
	v_fma_f64 v[63:64], v[136:137], v[6:7], -v[4:5]
	v_mul_f64_e32 v[4:5], v[126:127], v[10:11]
	s_delay_alu instid0(VALU_DEP_1) | instskip(SKIP_1) | instid1(VALU_DEP_2)
	v_fma_f64 v[65:66], v[124:125], v[8:9], v[4:5]
	v_mul_f64_e32 v[4:5], v[126:127], v[8:9]
	v_add_f64_e32 v[6:7], v[61:62], v[65:66]
	s_delay_alu instid0(VALU_DEP_2) | instskip(SKIP_1) | instid1(VALU_DEP_3)
	v_fma_f64 v[10:11], v[124:125], v[10:11], -v[4:5]
	v_mul_f64_e32 v[4:5], v[170:171], v[18:19]
	v_fma_f64 v[6:7], v[6:7], -0.5, v[0:1]
	s_delay_alu instid0(VALU_DEP_3) | instskip(NEXT) | instid1(VALU_DEP_3)
	v_add_f64_e64 v[8:9], v[63:64], -v[10:11]
	v_fma_f64 v[67:68], v[168:169], v[16:17], v[4:5]
	v_mul_f64_e32 v[4:5], v[170:171], v[16:17]
	v_add_f64_e64 v[16:17], v[61:62], -v[65:66]
	s_delay_alu instid0(VALU_DEP_2) | instskip(SKIP_1) | instid1(VALU_DEP_1)
	v_fma_f64 v[69:70], v[168:169], v[18:19], -v[4:5]
	v_mul_f64_e32 v[4:5], v[166:167], v[22:23]
	v_fma_f64 v[71:72], v[164:165], v[20:21], v[4:5]
	v_mul_f64_e32 v[4:5], v[166:167], v[20:21]
	s_delay_alu instid0(VALU_DEP_2) | instskip(NEXT) | instid1(VALU_DEP_2)
	v_add_f64_e32 v[18:19], v[67:68], v[71:72]
	v_fma_f64 v[22:23], v[164:165], v[22:23], -v[4:5]
	v_mul_f64_e32 v[4:5], v[178:179], v[30:31]
	s_delay_alu instid0(VALU_DEP_3) | instskip(NEXT) | instid1(VALU_DEP_3)
	v_fma_f64 v[18:19], v[18:19], -0.5, v[12:13]
	v_add_f64_e64 v[20:21], v[69:70], -v[22:23]
	s_delay_alu instid0(VALU_DEP_3) | instskip(SKIP_2) | instid1(VALU_DEP_2)
	v_fma_f64 v[73:74], v[176:177], v[28:29], v[4:5]
	v_mul_f64_e32 v[4:5], v[178:179], v[28:29]
	v_add_f64_e64 v[28:29], v[67:68], -v[71:72]
	v_fma_f64 v[75:76], v[176:177], v[30:31], -v[4:5]
	v_mul_f64_e32 v[4:5], v[174:175], v[34:35]
	s_delay_alu instid0(VALU_DEP_1) | instskip(SKIP_1) | instid1(VALU_DEP_2)
	v_fma_f64 v[77:78], v[172:173], v[32:33], v[4:5]
	v_mul_f64_e32 v[4:5], v[174:175], v[32:33]
	v_add_f64_e32 v[30:31], v[73:74], v[77:78]
	s_delay_alu instid0(VALU_DEP_2) | instskip(SKIP_1) | instid1(VALU_DEP_3)
	v_fma_f64 v[34:35], v[172:173], v[34:35], -v[4:5]
	v_mul_f64_e32 v[4:5], v[190:191], v[43:44]
	v_fma_f64 v[30:31], v[30:31], -0.5, v[24:25]
	s_delay_alu instid0(VALU_DEP_3) | instskip(NEXT) | instid1(VALU_DEP_3)
	v_add_f64_e64 v[32:33], v[75:76], -v[34:35]
	v_fma_f64 v[79:80], v[188:189], v[41:42], v[4:5]
	v_mul_f64_e32 v[4:5], v[190:191], v[41:42]
	v_add_f64_e64 v[41:42], v[73:74], -v[77:78]
	s_delay_alu instid0(VALU_DEP_2) | instskip(SKIP_1) | instid1(VALU_DEP_1)
	v_fma_f64 v[81:82], v[188:189], v[43:44], -v[4:5]
	v_mul_f64_e32 v[4:5], v[186:187], v[47:48]
	v_fma_f64 v[83:84], v[184:185], v[45:46], v[4:5]
	v_mul_f64_e32 v[4:5], v[186:187], v[45:46]
	s_delay_alu instid0(VALU_DEP_2) | instskip(NEXT) | instid1(VALU_DEP_2)
	v_add_f64_e32 v[43:44], v[79:80], v[83:84]
	v_fma_f64 v[47:48], v[184:185], v[47:48], -v[4:5]
	v_mul_f64_e32 v[4:5], v[206:207], v[55:56]
	s_delay_alu instid0(VALU_DEP_3) | instskip(NEXT) | instid1(VALU_DEP_3)
	v_fma_f64 v[43:44], v[43:44], -0.5, v[36:37]
	v_add_f64_e64 v[45:46], v[81:82], -v[47:48]
	s_delay_alu instid0(VALU_DEP_3) | instskip(SKIP_2) | instid1(VALU_DEP_2)
	v_fma_f64 v[85:86], v[204:205], v[53:54], v[4:5]
	v_mul_f64_e32 v[4:5], v[206:207], v[53:54]
	v_add_f64_e64 v[53:54], v[79:80], -v[83:84]
	v_fma_f64 v[87:88], v[204:205], v[55:56], -v[4:5]
	v_mul_f64_e32 v[4:5], v[194:195], v[59:60]
	s_delay_alu instid0(VALU_DEP_1) | instskip(SKIP_1) | instid1(VALU_DEP_2)
	v_fma_f64 v[89:90], v[192:193], v[57:58], v[4:5]
	v_mul_f64_e32 v[4:5], v[194:195], v[57:58]
	v_add_f64_e32 v[55:56], v[85:86], v[89:90]
	s_delay_alu instid0(VALU_DEP_2)
	v_fma_f64 v[59:60], v[192:193], v[59:60], -v[4:5]
	v_add_f64_e32 v[4:5], v[0:1], v[61:62]
	v_fma_f64 v[0:1], v[8:9], s[22:23], v[6:7]
	v_fma_f64 v[8:9], v[8:9], s[20:21], v[6:7]
	v_add_f64_e32 v[6:7], v[2:3], v[63:64]
	v_add_f64_e64 v[61:62], v[85:86], -v[89:90]
	v_fma_f64 v[55:56], v[55:56], -0.5, v[49:50]
	v_add_f64_e64 v[57:58], v[87:88], -v[59:60]
	v_add_f64_e32 v[4:5], v[4:5], v[65:66]
	v_add_f64_e32 v[6:7], v[6:7], v[10:11]
	v_add_f64_e32 v[10:11], v[63:64], v[10:11]
	s_delay_alu instid0(VALU_DEP_1) | instskip(NEXT) | instid1(VALU_DEP_1)
	v_fma_f64 v[10:11], v[10:11], -0.5, v[2:3]
	v_fma_f64 v[2:3], v[16:17], s[20:21], v[10:11]
	v_fma_f64 v[10:11], v[16:17], s[22:23], v[10:11]
	v_add_f64_e32 v[16:17], v[12:13], v[67:68]
	v_fma_f64 v[12:13], v[20:21], s[22:23], v[18:19]
	v_fma_f64 v[20:21], v[20:21], s[20:21], v[18:19]
	v_add_f64_e32 v[18:19], v[14:15], v[69:70]
	s_delay_alu instid0(VALU_DEP_4) | instskip(NEXT) | instid1(VALU_DEP_2)
	v_add_f64_e32 v[16:17], v[16:17], v[71:72]
	v_add_f64_e32 v[18:19], v[18:19], v[22:23]
	v_add_f64_e32 v[22:23], v[69:70], v[22:23]
	s_delay_alu instid0(VALU_DEP_1) | instskip(NEXT) | instid1(VALU_DEP_1)
	v_fma_f64 v[22:23], v[22:23], -0.5, v[14:15]
	v_fma_f64 v[14:15], v[28:29], s[20:21], v[22:23]
	v_fma_f64 v[22:23], v[28:29], s[22:23], v[22:23]
	v_add_f64_e32 v[28:29], v[24:25], v[73:74]
	v_fma_f64 v[24:25], v[32:33], s[22:23], v[30:31]
	v_fma_f64 v[32:33], v[32:33], s[20:21], v[30:31]
	v_add_f64_e32 v[30:31], v[26:27], v[75:76]
	s_delay_alu instid0(VALU_DEP_4) | instskip(NEXT) | instid1(VALU_DEP_2)
	;; [unrolled: 12-line block ×4, first 2 shown]
	v_add_f64_e32 v[53:54], v[53:54], v[89:90]
	v_add_f64_e32 v[55:56], v[55:56], v[59:60]
	;; [unrolled: 1-line block ×3, first 2 shown]
	s_delay_alu instid0(VALU_DEP_1) | instskip(NEXT) | instid1(VALU_DEP_1)
	v_fma_f64 v[59:60], v[59:60], -0.5, v[51:52]
	v_fma_f64 v[51:52], v[61:62], s[20:21], v[59:60]
	v_fma_f64 v[59:60], v[61:62], s[22:23], v[59:60]
	scratch_load_b32 v61, off, off offset:532 th:TH_LOAD_LU ; 4-byte Folded Reload
	s_wait_loadcnt 0x0
	ds_store_b128 v61, v[4:7]
	ds_store_b128 v61, v[0:3] offset:2000
	ds_store_b128 v61, v[8:11] offset:4000
	scratch_load_b32 v0, off, off offset:528 th:TH_LOAD_LU ; 4-byte Folded Reload
	s_wait_loadcnt 0x0
	ds_store_b128 v0, v[16:19]
	ds_store_b128 v0, v[12:15] offset:2000
	ds_store_b128 v0, v[20:23] offset:4000
	;; [unrolled: 5-line block ×5, first 2 shown]
	global_wb scope:SCOPE_SE
	s_wait_dscnt 0x0
	s_barrier_signal -1
	s_barrier_wait -1
	global_inv scope:SCOPE_SE
	ds_load_b128 v[0:3], v40
	ds_load_b128 v[4:7], v40 offset:18000
	ds_load_b128 v[8:11], v40 offset:36000
	;; [unrolled: 1-line block ×14, first 2 shown]
	global_wb scope:SCOPE_SE
	s_wait_dscnt 0x0
	s_barrier_signal -1
	s_barrier_wait -1
	global_inv scope:SCOPE_SE
	v_mul_f64_e32 v[61:62], v[202:203], v[6:7]
	s_delay_alu instid0(VALU_DEP_1) | instskip(SKIP_1) | instid1(VALU_DEP_1)
	v_fma_f64 v[61:62], v[200:201], v[4:5], v[61:62]
	v_mul_f64_e32 v[4:5], v[202:203], v[4:5]
	v_fma_f64 v[63:64], v[200:201], v[6:7], -v[4:5]
	v_mul_f64_e32 v[4:5], v[198:199], v[10:11]
	s_delay_alu instid0(VALU_DEP_1) | instskip(SKIP_1) | instid1(VALU_DEP_2)
	v_fma_f64 v[65:66], v[196:197], v[8:9], v[4:5]
	v_mul_f64_e32 v[4:5], v[198:199], v[8:9]
	v_add_f64_e32 v[6:7], v[61:62], v[65:66]
	s_delay_alu instid0(VALU_DEP_2) | instskip(SKIP_1) | instid1(VALU_DEP_3)
	v_fma_f64 v[10:11], v[196:197], v[10:11], -v[4:5]
	v_mul_f64_e32 v[4:5], v[214:215], v[18:19]
	v_fma_f64 v[6:7], v[6:7], -0.5, v[0:1]
	s_delay_alu instid0(VALU_DEP_3) | instskip(NEXT) | instid1(VALU_DEP_3)
	v_add_f64_e64 v[8:9], v[63:64], -v[10:11]
	v_fma_f64 v[67:68], v[212:213], v[16:17], v[4:5]
	v_mul_f64_e32 v[4:5], v[214:215], v[16:17]
	v_add_f64_e64 v[16:17], v[61:62], -v[65:66]
	s_delay_alu instid0(VALU_DEP_2) | instskip(SKIP_1) | instid1(VALU_DEP_1)
	v_fma_f64 v[69:70], v[212:213], v[18:19], -v[4:5]
	v_mul_f64_e32 v[4:5], v[210:211], v[22:23]
	v_fma_f64 v[71:72], v[208:209], v[20:21], v[4:5]
	v_mul_f64_e32 v[4:5], v[210:211], v[20:21]
	s_delay_alu instid0(VALU_DEP_2) | instskip(NEXT) | instid1(VALU_DEP_2)
	v_add_f64_e32 v[18:19], v[67:68], v[71:72]
	v_fma_f64 v[22:23], v[208:209], v[22:23], -v[4:5]
	v_mul_f64_e32 v[4:5], v[222:223], v[30:31]
	s_delay_alu instid0(VALU_DEP_3) | instskip(NEXT) | instid1(VALU_DEP_3)
	v_fma_f64 v[18:19], v[18:19], -0.5, v[12:13]
	v_add_f64_e64 v[20:21], v[69:70], -v[22:23]
	s_delay_alu instid0(VALU_DEP_3) | instskip(SKIP_2) | instid1(VALU_DEP_2)
	v_fma_f64 v[73:74], v[220:221], v[28:29], v[4:5]
	v_mul_f64_e32 v[4:5], v[222:223], v[28:29]
	v_add_f64_e64 v[28:29], v[67:68], -v[71:72]
	v_fma_f64 v[75:76], v[220:221], v[30:31], -v[4:5]
	v_mul_f64_e32 v[4:5], v[218:219], v[34:35]
	s_delay_alu instid0(VALU_DEP_1) | instskip(SKIP_1) | instid1(VALU_DEP_2)
	v_fma_f64 v[77:78], v[216:217], v[32:33], v[4:5]
	v_mul_f64_e32 v[4:5], v[218:219], v[32:33]
	v_add_f64_e32 v[30:31], v[73:74], v[77:78]
	s_delay_alu instid0(VALU_DEP_2) | instskip(SKIP_1) | instid1(VALU_DEP_3)
	v_fma_f64 v[34:35], v[216:217], v[34:35], -v[4:5]
	v_mul_f64_e32 v[4:5], v[250:251], v[43:44]
	v_fma_f64 v[30:31], v[30:31], -0.5, v[24:25]
	s_delay_alu instid0(VALU_DEP_3) | instskip(NEXT) | instid1(VALU_DEP_3)
	v_add_f64_e64 v[32:33], v[75:76], -v[34:35]
	v_fma_f64 v[79:80], v[248:249], v[41:42], v[4:5]
	v_mul_f64_e32 v[4:5], v[250:251], v[41:42]
	v_add_f64_e64 v[41:42], v[73:74], -v[77:78]
	s_delay_alu instid0(VALU_DEP_2) | instskip(SKIP_1) | instid1(VALU_DEP_1)
	v_fma_f64 v[81:82], v[248:249], v[43:44], -v[4:5]
	v_mul_f64_e32 v[4:5], v[234:235], v[47:48]
	v_fma_f64 v[83:84], v[232:233], v[45:46], v[4:5]
	v_mul_f64_e32 v[4:5], v[234:235], v[45:46]
	s_delay_alu instid0(VALU_DEP_2) | instskip(NEXT) | instid1(VALU_DEP_2)
	v_add_f64_e32 v[43:44], v[79:80], v[83:84]
	v_fma_f64 v[47:48], v[232:233], v[47:48], -v[4:5]
	v_mul_f64_e32 v[4:5], v[103:104], v[55:56]
	s_delay_alu instid0(VALU_DEP_3) | instskip(NEXT) | instid1(VALU_DEP_3)
	v_fma_f64 v[43:44], v[43:44], -0.5, v[36:37]
	v_add_f64_e64 v[45:46], v[81:82], -v[47:48]
	s_delay_alu instid0(VALU_DEP_3) | instskip(SKIP_2) | instid1(VALU_DEP_2)
	v_fma_f64 v[85:86], v[101:102], v[53:54], v[4:5]
	v_mul_f64_e32 v[4:5], v[103:104], v[53:54]
	v_add_f64_e64 v[53:54], v[79:80], -v[83:84]
	v_fma_f64 v[87:88], v[101:102], v[55:56], -v[4:5]
	v_mul_f64_e32 v[4:5], v[246:247], v[59:60]
	s_delay_alu instid0(VALU_DEP_1) | instskip(SKIP_1) | instid1(VALU_DEP_2)
	v_fma_f64 v[89:90], v[244:245], v[57:58], v[4:5]
	v_mul_f64_e32 v[4:5], v[246:247], v[57:58]
	v_add_f64_e32 v[55:56], v[85:86], v[89:90]
	s_delay_alu instid0(VALU_DEP_2)
	v_fma_f64 v[59:60], v[244:245], v[59:60], -v[4:5]
	v_add_f64_e32 v[4:5], v[0:1], v[61:62]
	v_fma_f64 v[0:1], v[8:9], s[22:23], v[6:7]
	v_fma_f64 v[8:9], v[8:9], s[20:21], v[6:7]
	v_add_f64_e32 v[6:7], v[2:3], v[63:64]
	v_add_f64_e64 v[61:62], v[85:86], -v[89:90]
	v_fma_f64 v[55:56], v[55:56], -0.5, v[49:50]
	v_add_f64_e64 v[57:58], v[87:88], -v[59:60]
	v_add_f64_e32 v[4:5], v[4:5], v[65:66]
	v_add_f64_e32 v[6:7], v[6:7], v[10:11]
	;; [unrolled: 1-line block ×3, first 2 shown]
	s_delay_alu instid0(VALU_DEP_1) | instskip(NEXT) | instid1(VALU_DEP_1)
	v_fma_f64 v[10:11], v[10:11], -0.5, v[2:3]
	v_fma_f64 v[2:3], v[16:17], s[20:21], v[10:11]
	v_fma_f64 v[10:11], v[16:17], s[22:23], v[10:11]
	ds_store_b128 v40, v[4:7]
	ds_store_b128 v40, v[0:3] offset:6000
	ds_store_b128 v40, v[8:11] offset:12000
	scratch_load_b32 v0, off, off offset:540 th:TH_LOAD_LU ; 4-byte Folded Reload
	v_add_f64_e32 v[16:17], v[12:13], v[67:68]
	v_fma_f64 v[12:13], v[20:21], s[22:23], v[18:19]
	v_fma_f64 v[20:21], v[20:21], s[20:21], v[18:19]
	v_add_f64_e32 v[18:19], v[14:15], v[69:70]
	s_delay_alu instid0(VALU_DEP_4) | instskip(NEXT) | instid1(VALU_DEP_2)
	v_add_f64_e32 v[16:17], v[16:17], v[71:72]
	v_add_f64_e32 v[18:19], v[18:19], v[22:23]
	;; [unrolled: 1-line block ×3, first 2 shown]
	s_delay_alu instid0(VALU_DEP_1) | instskip(NEXT) | instid1(VALU_DEP_1)
	v_fma_f64 v[22:23], v[22:23], -0.5, v[14:15]
	v_fma_f64 v[14:15], v[28:29], s[20:21], v[22:23]
	v_fma_f64 v[22:23], v[28:29], s[22:23], v[22:23]
	v_add_f64_e32 v[28:29], v[24:25], v[73:74]
	v_fma_f64 v[24:25], v[32:33], s[22:23], v[30:31]
	v_fma_f64 v[32:33], v[32:33], s[20:21], v[30:31]
	v_add_f64_e32 v[30:31], v[26:27], v[75:76]
	s_delay_alu instid0(VALU_DEP_4) | instskip(NEXT) | instid1(VALU_DEP_2)
	v_add_f64_e32 v[28:29], v[28:29], v[77:78]
	v_add_f64_e32 v[30:31], v[30:31], v[34:35]
	v_add_f64_e32 v[34:35], v[75:76], v[34:35]
	s_delay_alu instid0(VALU_DEP_1) | instskip(NEXT) | instid1(VALU_DEP_1)
	v_fma_f64 v[34:35], v[34:35], -0.5, v[26:27]
	v_fma_f64 v[26:27], v[41:42], s[20:21], v[34:35]
	v_fma_f64 v[34:35], v[41:42], s[22:23], v[34:35]
	s_wait_loadcnt 0x0
	ds_store_b128 v0, v[16:19]
	ds_store_b128 v0, v[12:15] offset:6000
	ds_store_b128 v0, v[20:23] offset:12000
	;; [unrolled: 1-line block ×5, first 2 shown]
	scratch_load_b32 v0, off, off offset:536 th:TH_LOAD_LU ; 4-byte Folded Reload
	v_add_f64_e32 v[41:42], v[36:37], v[79:80]
	v_fma_f64 v[36:37], v[45:46], s[22:23], v[43:44]
	v_fma_f64 v[45:46], v[45:46], s[20:21], v[43:44]
	v_add_f64_e32 v[43:44], v[38:39], v[81:82]
	s_delay_alu instid0(VALU_DEP_4) | instskip(NEXT) | instid1(VALU_DEP_2)
	v_add_f64_e32 v[41:42], v[41:42], v[83:84]
	v_add_f64_e32 v[43:44], v[43:44], v[47:48]
	;; [unrolled: 1-line block ×3, first 2 shown]
	s_delay_alu instid0(VALU_DEP_1) | instskip(NEXT) | instid1(VALU_DEP_1)
	v_fma_f64 v[47:48], v[47:48], -0.5, v[38:39]
	v_fma_f64 v[38:39], v[53:54], s[20:21], v[47:48]
	v_fma_f64 v[47:48], v[53:54], s[22:23], v[47:48]
	v_add_f64_e32 v[53:54], v[49:50], v[85:86]
	v_fma_f64 v[49:50], v[57:58], s[22:23], v[55:56]
	v_fma_f64 v[57:58], v[57:58], s[20:21], v[55:56]
	v_add_f64_e32 v[55:56], v[51:52], v[87:88]
	s_delay_alu instid0(VALU_DEP_4) | instskip(NEXT) | instid1(VALU_DEP_2)
	v_add_f64_e32 v[53:54], v[53:54], v[89:90]
	v_add_f64_e32 v[55:56], v[55:56], v[59:60]
	;; [unrolled: 1-line block ×3, first 2 shown]
	s_delay_alu instid0(VALU_DEP_1) | instskip(NEXT) | instid1(VALU_DEP_1)
	v_fma_f64 v[59:60], v[59:60], -0.5, v[51:52]
	v_fma_f64 v[51:52], v[61:62], s[20:21], v[59:60]
	v_fma_f64 v[59:60], v[61:62], s[22:23], v[59:60]
	s_wait_loadcnt 0x0
	ds_store_b128 v0, v[41:44]
	ds_store_b128 v0, v[36:39] offset:6000
	ds_store_b128 v0, v[45:48] offset:12000
	ds_store_b128 v100, v[53:56] offset:36000
	ds_store_b128 v100, v[49:52] offset:42000
	ds_store_b128 v100, v[57:60] offset:48000
	global_wb scope:SCOPE_SE
	s_wait_dscnt 0x0
	s_barrier_signal -1
	s_barrier_wait -1
	global_inv scope:SCOPE_SE
	ds_load_b128 v[0:3], v40
	ds_load_b128 v[4:7], v40 offset:18000
	ds_load_b128 v[8:11], v40 offset:36000
	;; [unrolled: 1-line block ×14, first 2 shown]
	s_wait_dscnt 0xd
	v_mul_f64_e32 v[61:62], v[226:227], v[6:7]
	s_delay_alu instid0(VALU_DEP_1) | instskip(SKIP_1) | instid1(VALU_DEP_1)
	v_fma_f64 v[61:62], v[224:225], v[4:5], v[61:62]
	v_mul_f64_e32 v[4:5], v[226:227], v[4:5]
	v_fma_f64 v[63:64], v[224:225], v[6:7], -v[4:5]
	s_wait_dscnt 0xc
	v_mul_f64_e32 v[4:5], v[182:183], v[10:11]
	s_delay_alu instid0(VALU_DEP_1) | instskip(SKIP_1) | instid1(VALU_DEP_2)
	v_fma_f64 v[65:66], v[180:181], v[8:9], v[4:5]
	v_mul_f64_e32 v[4:5], v[182:183], v[8:9]
	v_add_f64_e32 v[6:7], v[61:62], v[65:66]
	s_delay_alu instid0(VALU_DEP_2) | instskip(SKIP_2) | instid1(VALU_DEP_3)
	v_fma_f64 v[10:11], v[180:181], v[10:11], -v[4:5]
	s_wait_dscnt 0xa
	v_mul_f64_e32 v[4:5], v[238:239], v[18:19]
	v_fma_f64 v[6:7], v[6:7], -0.5, v[0:1]
	s_delay_alu instid0(VALU_DEP_3) | instskip(NEXT) | instid1(VALU_DEP_3)
	v_add_f64_e64 v[8:9], v[63:64], -v[10:11]
	v_fma_f64 v[67:68], v[236:237], v[16:17], v[4:5]
	v_mul_f64_e32 v[4:5], v[238:239], v[16:17]
	v_add_f64_e64 v[16:17], v[61:62], -v[65:66]
	s_delay_alu instid0(VALU_DEP_2) | instskip(SKIP_2) | instid1(VALU_DEP_1)
	v_fma_f64 v[69:70], v[236:237], v[18:19], -v[4:5]
	s_wait_dscnt 0x9
	v_mul_f64_e32 v[4:5], v[230:231], v[22:23]
	v_fma_f64 v[71:72], v[228:229], v[20:21], v[4:5]
	v_mul_f64_e32 v[4:5], v[230:231], v[20:21]
	s_delay_alu instid0(VALU_DEP_2) | instskip(NEXT) | instid1(VALU_DEP_2)
	v_add_f64_e32 v[18:19], v[67:68], v[71:72]
	v_fma_f64 v[22:23], v[228:229], v[22:23], -v[4:5]
	s_wait_dscnt 0x7
	v_mul_f64_e32 v[4:5], v[254:255], v[30:31]
	s_delay_alu instid0(VALU_DEP_3) | instskip(NEXT) | instid1(VALU_DEP_3)
	v_fma_f64 v[18:19], v[18:19], -0.5, v[12:13]
	v_add_f64_e64 v[20:21], v[69:70], -v[22:23]
	s_delay_alu instid0(VALU_DEP_3) | instskip(SKIP_2) | instid1(VALU_DEP_2)
	v_fma_f64 v[73:74], v[252:253], v[28:29], v[4:5]
	v_mul_f64_e32 v[4:5], v[254:255], v[28:29]
	v_add_f64_e64 v[28:29], v[67:68], -v[71:72]
	v_fma_f64 v[75:76], v[252:253], v[30:31], -v[4:5]
	s_wait_dscnt 0x6
	v_mul_f64_e32 v[4:5], v[242:243], v[34:35]
	s_delay_alu instid0(VALU_DEP_1) | instskip(SKIP_1) | instid1(VALU_DEP_2)
	v_fma_f64 v[77:78], v[240:241], v[32:33], v[4:5]
	v_mul_f64_e32 v[4:5], v[242:243], v[32:33]
	v_add_f64_e32 v[30:31], v[73:74], v[77:78]
	s_delay_alu instid0(VALU_DEP_2) | instskip(SKIP_2) | instid1(VALU_DEP_3)
	v_fma_f64 v[34:35], v[240:241], v[34:35], -v[4:5]
	s_wait_dscnt 0x4
	v_mul_f64_e32 v[4:5], v[107:108], v[43:44]
	v_fma_f64 v[30:31], v[30:31], -0.5, v[24:25]
	s_delay_alu instid0(VALU_DEP_3) | instskip(NEXT) | instid1(VALU_DEP_3)
	v_add_f64_e64 v[32:33], v[75:76], -v[34:35]
	v_fma_f64 v[79:80], v[105:106], v[41:42], v[4:5]
	v_mul_f64_e32 v[4:5], v[107:108], v[41:42]
	v_add_f64_e64 v[41:42], v[73:74], -v[77:78]
	s_delay_alu instid0(VALU_DEP_2) | instskip(SKIP_2) | instid1(VALU_DEP_1)
	v_fma_f64 v[81:82], v[105:106], v[43:44], -v[4:5]
	s_wait_dscnt 0x3
	v_mul_f64_e32 v[4:5], v[111:112], v[47:48]
	v_fma_f64 v[83:84], v[109:110], v[45:46], v[4:5]
	v_mul_f64_e32 v[4:5], v[111:112], v[45:46]
	s_delay_alu instid0(VALU_DEP_2) | instskip(NEXT) | instid1(VALU_DEP_2)
	v_add_f64_e32 v[43:44], v[79:80], v[83:84]
	v_fma_f64 v[47:48], v[109:110], v[47:48], -v[4:5]
	s_wait_dscnt 0x1
	v_mul_f64_e32 v[4:5], v[94:95], v[55:56]
	s_delay_alu instid0(VALU_DEP_3) | instskip(NEXT) | instid1(VALU_DEP_3)
	v_fma_f64 v[43:44], v[43:44], -0.5, v[36:37]
	v_add_f64_e64 v[45:46], v[81:82], -v[47:48]
	s_delay_alu instid0(VALU_DEP_3) | instskip(SKIP_2) | instid1(VALU_DEP_2)
	v_fma_f64 v[85:86], v[92:93], v[53:54], v[4:5]
	v_mul_f64_e32 v[4:5], v[94:95], v[53:54]
	v_add_f64_e64 v[53:54], v[79:80], -v[83:84]
	v_fma_f64 v[87:88], v[92:93], v[55:56], -v[4:5]
	s_wait_dscnt 0x0
	v_mul_f64_e32 v[4:5], v[115:116], v[59:60]
	s_delay_alu instid0(VALU_DEP_1) | instskip(SKIP_1) | instid1(VALU_DEP_2)
	v_fma_f64 v[89:90], v[113:114], v[57:58], v[4:5]
	v_mul_f64_e32 v[4:5], v[115:116], v[57:58]
	v_add_f64_e32 v[55:56], v[85:86], v[89:90]
	s_delay_alu instid0(VALU_DEP_2)
	v_fma_f64 v[59:60], v[113:114], v[59:60], -v[4:5]
	v_add_f64_e32 v[4:5], v[0:1], v[61:62]
	v_fma_f64 v[0:1], v[8:9], s[22:23], v[6:7]
	v_fma_f64 v[8:9], v[8:9], s[20:21], v[6:7]
	v_add_f64_e32 v[6:7], v[2:3], v[63:64]
	v_add_f64_e64 v[61:62], v[85:86], -v[89:90]
	v_fma_f64 v[55:56], v[55:56], -0.5, v[49:50]
	v_add_f64_e64 v[57:58], v[87:88], -v[59:60]
	v_add_f64_e32 v[4:5], v[4:5], v[65:66]
	v_add_f64_e32 v[6:7], v[6:7], v[10:11]
	v_add_f64_e32 v[10:11], v[63:64], v[10:11]
	s_delay_alu instid0(VALU_DEP_1) | instskip(NEXT) | instid1(VALU_DEP_1)
	v_fma_f64 v[10:11], v[10:11], -0.5, v[2:3]
	v_fma_f64 v[2:3], v[16:17], s[20:21], v[10:11]
	v_fma_f64 v[10:11], v[16:17], s[22:23], v[10:11]
	v_add_f64_e32 v[16:17], v[12:13], v[67:68]
	v_fma_f64 v[12:13], v[20:21], s[22:23], v[18:19]
	v_fma_f64 v[20:21], v[20:21], s[20:21], v[18:19]
	v_add_f64_e32 v[18:19], v[14:15], v[69:70]
	s_delay_alu instid0(VALU_DEP_4) | instskip(NEXT) | instid1(VALU_DEP_2)
	v_add_f64_e32 v[16:17], v[16:17], v[71:72]
	v_add_f64_e32 v[18:19], v[18:19], v[22:23]
	v_add_f64_e32 v[22:23], v[69:70], v[22:23]
	s_delay_alu instid0(VALU_DEP_1) | instskip(NEXT) | instid1(VALU_DEP_1)
	v_fma_f64 v[22:23], v[22:23], -0.5, v[14:15]
	v_fma_f64 v[14:15], v[28:29], s[20:21], v[22:23]
	v_fma_f64 v[22:23], v[28:29], s[22:23], v[22:23]
	v_add_f64_e32 v[28:29], v[24:25], v[73:74]
	v_fma_f64 v[24:25], v[32:33], s[22:23], v[30:31]
	v_fma_f64 v[32:33], v[32:33], s[20:21], v[30:31]
	v_add_f64_e32 v[30:31], v[26:27], v[75:76]
	s_delay_alu instid0(VALU_DEP_4) | instskip(NEXT) | instid1(VALU_DEP_2)
	;; [unrolled: 12-line block ×4, first 2 shown]
	v_add_f64_e32 v[53:54], v[53:54], v[89:90]
	v_add_f64_e32 v[55:56], v[55:56], v[59:60]
	;; [unrolled: 1-line block ×3, first 2 shown]
	s_delay_alu instid0(VALU_DEP_1) | instskip(NEXT) | instid1(VALU_DEP_1)
	v_fma_f64 v[59:60], v[59:60], -0.5, v[51:52]
	v_fma_f64 v[51:52], v[61:62], s[20:21], v[59:60]
	v_fma_f64 v[59:60], v[61:62], s[22:23], v[59:60]
	ds_store_b128 v40, v[4:7]
	ds_store_b128 v40, v[0:3] offset:18000
	ds_store_b128 v40, v[8:11] offset:36000
	;; [unrolled: 1-line block ×14, first 2 shown]
	global_wb scope:SCOPE_SE
	s_wait_dscnt 0x0
	s_barrier_signal -1
	s_barrier_wait -1
	global_inv scope:SCOPE_SE
	scratch_load_b128 v[6:9], off, off offset:232 th:TH_LOAD_LU ; 16-byte Folded Reload
	ds_load_b128 v[0:3], v40
	scratch_load_b128 v[10:13], off, off offset:176 th:TH_LOAD_LU ; 16-byte Folded Reload
	s_wait_loadcnt_dscnt 0x100
	v_mul_f64_e32 v[4:5], v[8:9], v[2:3]
	s_delay_alu instid0(VALU_DEP_1) | instskip(SKIP_2) | instid1(VALU_DEP_2)
	v_fma_f64 v[4:5], v[6:7], v[0:1], v[4:5]
	v_mul_f64_e32 v[0:1], v[8:9], v[0:1]
	s_wait_alu 0xfffe
	v_mul_f64_e32 v[4:5], s[2:3], v[4:5]
	s_delay_alu instid0(VALU_DEP_2) | instskip(SKIP_4) | instid1(VALU_DEP_1)
	v_fma_f64 v[0:1], v[6:7], v[2:3], -v[0:1]
	scratch_load_b32 v2, off, off offset:324 th:TH_LOAD_LU ; 4-byte Folded Reload
	v_mul_f64_e32 v[6:7], s[2:3], v[0:1]
	s_wait_loadcnt 0x0
	v_mad_co_u64_u32 v[0:1], null, s0, v2, 0
	v_mad_co_u64_u32 v[1:2], null, s1, v2, v[1:2]
	scratch_load_b64 v[2:3], off, off offset:224 th:TH_LOAD_LU ; 8-byte Folded Reload
	s_mul_i32 s1, s1, 0xffff6550
	s_wait_alu 0xfffe
	s_sub_co_i32 s1, s1, s0
	v_lshlrev_b64_e32 v[0:1], 4, v[0:1]
	s_wait_loadcnt 0x0
	v_lshlrev_b64_e32 v[2:3], 4, v[2:3]
	s_delay_alu instid0(VALU_DEP_1) | instskip(SKIP_1) | instid1(VALU_DEP_2)
	v_add_co_u32 v2, vcc_lo, s12, v2
	s_wait_alu 0xfffd
	v_add_co_ci_u32_e32 v3, vcc_lo, s13, v3, vcc_lo
	s_delay_alu instid0(VALU_DEP_2) | instskip(SKIP_1) | instid1(VALU_DEP_2)
	v_add_co_u32 v8, vcc_lo, v2, v0
	s_wait_alu 0xfffd
	v_add_co_ci_u32_e32 v9, vcc_lo, v3, v1, vcc_lo
	ds_load_b128 v[0:3], v40 offset:10800
	global_store_b128 v[8:9], v[4:7], off
	v_add_co_u32 v8, vcc_lo, v8, s4
	s_wait_alu 0xfffd
	v_add_co_ci_u32_e32 v9, vcc_lo, s5, v9, vcc_lo
	s_wait_dscnt 0x0
	v_mul_f64_e32 v[4:5], v[12:13], v[2:3]
	s_delay_alu instid0(VALU_DEP_1) | instskip(SKIP_1) | instid1(VALU_DEP_2)
	v_fma_f64 v[4:5], v[10:11], v[0:1], v[4:5]
	v_mul_f64_e32 v[0:1], v[12:13], v[0:1]
	v_mul_f64_e32 v[4:5], s[2:3], v[4:5]
	s_delay_alu instid0(VALU_DEP_2)
	v_fma_f64 v[0:1], v[10:11], v[2:3], -v[0:1]
	scratch_load_b128 v[10:13], off, off offset:16 th:TH_LOAD_LU ; 16-byte Folded Reload
	v_mul_f64_e32 v[6:7], s[2:3], v[0:1]
	ds_load_b128 v[0:3], v40 offset:21600
	global_store_b128 v[8:9], v[4:7], off
	v_add_co_u32 v8, vcc_lo, v8, s4
	s_wait_alu 0xfffd
	v_add_co_ci_u32_e32 v9, vcc_lo, s5, v9, vcc_lo
	s_wait_loadcnt_dscnt 0x0
	v_mul_f64_e32 v[4:5], v[12:13], v[2:3]
	s_delay_alu instid0(VALU_DEP_1) | instskip(SKIP_1) | instid1(VALU_DEP_2)
	v_fma_f64 v[4:5], v[10:11], v[0:1], v[4:5]
	v_mul_f64_e32 v[0:1], v[12:13], v[0:1]
	v_mul_f64_e32 v[4:5], s[2:3], v[4:5]
	s_delay_alu instid0(VALU_DEP_2)
	v_fma_f64 v[0:1], v[10:11], v[2:3], -v[0:1]
	scratch_load_b128 v[10:13], off, off offset:32 th:TH_LOAD_LU ; 16-byte Folded Reload
	v_mul_f64_e32 v[6:7], s[2:3], v[0:1]
	ds_load_b128 v[0:3], v40 offset:32400
	global_store_b128 v[8:9], v[4:7], off
	v_add_co_u32 v8, vcc_lo, v8, s4
	s_wait_alu 0xfffd
	v_add_co_ci_u32_e32 v9, vcc_lo, s5, v9, vcc_lo
	s_wait_loadcnt_dscnt 0x0
	;; [unrolled: 15-line block ×3, first 2 shown]
	v_mul_f64_e32 v[4:5], v[12:13], v[2:3]
	s_delay_alu instid0(VALU_DEP_1) | instskip(SKIP_1) | instid1(VALU_DEP_2)
	v_fma_f64 v[4:5], v[10:11], v[0:1], v[4:5]
	v_mul_f64_e32 v[0:1], v[12:13], v[0:1]
	v_mul_f64_e32 v[4:5], s[2:3], v[4:5]
	s_delay_alu instid0(VALU_DEP_2)
	v_fma_f64 v[0:1], v[10:11], v[2:3], -v[0:1]
	scratch_load_b128 v[10:13], off, off offset:112 th:TH_LOAD_LU ; 16-byte Folded Reload
	v_mul_f64_e32 v[6:7], s[2:3], v[0:1]
	ds_load_b128 v[0:3], v40 offset:3600
	global_store_b128 v[8:9], v[4:7], off
	v_mad_co_u64_u32 v[8:9], null, 0xffff6550, s0, v[8:9]
	s_wait_alu 0xfffe
	s_delay_alu instid0(VALU_DEP_1) | instskip(SKIP_2) | instid1(VALU_DEP_1)
	v_add_nc_u32_e32 v9, s1, v9
	s_wait_loadcnt_dscnt 0x0
	v_mul_f64_e32 v[4:5], v[12:13], v[2:3]
	v_fma_f64 v[4:5], v[10:11], v[0:1], v[4:5]
	v_mul_f64_e32 v[0:1], v[12:13], v[0:1]
	s_delay_alu instid0(VALU_DEP_2) | instskip(NEXT) | instid1(VALU_DEP_2)
	v_mul_f64_e32 v[4:5], s[2:3], v[4:5]
	v_fma_f64 v[0:1], v[10:11], v[2:3], -v[0:1]
	scratch_load_b128 v[10:13], off, off th:TH_LOAD_LU ; 16-byte Folded Reload
	v_mul_f64_e32 v[6:7], s[2:3], v[0:1]
	ds_load_b128 v[0:3], v40 offset:14400
	global_store_b128 v[8:9], v[4:7], off
	v_add_co_u32 v8, vcc_lo, v8, s4
	s_wait_alu 0xfffd
	v_add_co_ci_u32_e32 v9, vcc_lo, s5, v9, vcc_lo
	s_wait_loadcnt_dscnt 0x0
	v_mul_f64_e32 v[4:5], v[12:13], v[2:3]
	s_delay_alu instid0(VALU_DEP_1) | instskip(SKIP_1) | instid1(VALU_DEP_2)
	v_fma_f64 v[4:5], v[10:11], v[0:1], v[4:5]
	v_mul_f64_e32 v[0:1], v[12:13], v[0:1]
	v_mul_f64_e32 v[4:5], s[2:3], v[4:5]
	s_delay_alu instid0(VALU_DEP_2)
	v_fma_f64 v[0:1], v[10:11], v[2:3], -v[0:1]
	scratch_load_b128 v[10:13], off, off offset:48 th:TH_LOAD_LU ; 16-byte Folded Reload
	v_mul_f64_e32 v[6:7], s[2:3], v[0:1]
	ds_load_b128 v[0:3], v40 offset:25200
	global_store_b128 v[8:9], v[4:7], off
	v_add_co_u32 v8, vcc_lo, v8, s4
	s_wait_alu 0xfffd
	v_add_co_ci_u32_e32 v9, vcc_lo, s5, v9, vcc_lo
	s_wait_loadcnt_dscnt 0x0
	v_mul_f64_e32 v[4:5], v[12:13], v[2:3]
	s_delay_alu instid0(VALU_DEP_1) | instskip(SKIP_1) | instid1(VALU_DEP_2)
	v_fma_f64 v[4:5], v[10:11], v[0:1], v[4:5]
	v_mul_f64_e32 v[0:1], v[12:13], v[0:1]
	v_mul_f64_e32 v[4:5], s[2:3], v[4:5]
	s_delay_alu instid0(VALU_DEP_2)
	v_fma_f64 v[0:1], v[10:11], v[2:3], -v[0:1]
	scratch_load_b128 v[10:13], off, off offset:80 th:TH_LOAD_LU ; 16-byte Folded Reload
	;; [unrolled: 15-line block ×4, first 2 shown]
	v_mul_f64_e32 v[6:7], s[2:3], v[0:1]
	ds_load_b128 v[0:3], v40 offset:7200
	global_store_b128 v[8:9], v[4:7], off
	v_mad_co_u64_u32 v[8:9], null, 0xffff6550, s0, v[8:9]
	s_delay_alu instid0(VALU_DEP_1) | instskip(SKIP_2) | instid1(VALU_DEP_1)
	v_add_nc_u32_e32 v9, s1, v9
	s_wait_loadcnt_dscnt 0x0
	v_mul_f64_e32 v[4:5], v[12:13], v[2:3]
	v_fma_f64 v[4:5], v[10:11], v[0:1], v[4:5]
	v_mul_f64_e32 v[0:1], v[12:13], v[0:1]
	s_delay_alu instid0(VALU_DEP_2) | instskip(NEXT) | instid1(VALU_DEP_2)
	v_mul_f64_e32 v[4:5], s[2:3], v[4:5]
	v_fma_f64 v[0:1], v[10:11], v[2:3], -v[0:1]
	scratch_load_b128 v[10:13], off, off offset:144 th:TH_LOAD_LU ; 16-byte Folded Reload
	v_mul_f64_e32 v[6:7], s[2:3], v[0:1]
	ds_load_b128 v[0:3], v40 offset:18000
	global_store_b128 v[8:9], v[4:7], off
	v_add_co_u32 v8, vcc_lo, v8, s4
	s_wait_alu 0xfffd
	v_add_co_ci_u32_e32 v9, vcc_lo, s5, v9, vcc_lo
	s_wait_loadcnt_dscnt 0x0
	v_mul_f64_e32 v[4:5], v[12:13], v[2:3]
	s_delay_alu instid0(VALU_DEP_1) | instskip(SKIP_1) | instid1(VALU_DEP_2)
	v_fma_f64 v[4:5], v[10:11], v[0:1], v[4:5]
	v_mul_f64_e32 v[0:1], v[12:13], v[0:1]
	v_mul_f64_e32 v[4:5], s[2:3], v[4:5]
	s_delay_alu instid0(VALU_DEP_2)
	v_fma_f64 v[0:1], v[10:11], v[2:3], -v[0:1]
	scratch_load_b128 v[10:13], off, off offset:160 th:TH_LOAD_LU ; 16-byte Folded Reload
	v_mul_f64_e32 v[6:7], s[2:3], v[0:1]
	ds_load_b128 v[0:3], v40 offset:28800
	global_store_b128 v[8:9], v[4:7], off
	v_add_co_u32 v8, vcc_lo, v8, s4
	s_wait_alu 0xfffd
	v_add_co_ci_u32_e32 v9, vcc_lo, s5, v9, vcc_lo
	s_wait_loadcnt_dscnt 0x0
	v_mul_f64_e32 v[4:5], v[12:13], v[2:3]
	s_delay_alu instid0(VALU_DEP_1) | instskip(SKIP_1) | instid1(VALU_DEP_2)
	v_fma_f64 v[4:5], v[10:11], v[0:1], v[4:5]
	v_mul_f64_e32 v[0:1], v[12:13], v[0:1]
	v_mul_f64_e32 v[4:5], s[2:3], v[4:5]
	s_delay_alu instid0(VALU_DEP_2)
	;; [unrolled: 15-line block ×3, first 2 shown]
	v_fma_f64 v[0:1], v[10:11], v[2:3], -v[0:1]
	scratch_load_b128 v[10:13], off, off offset:208 th:TH_LOAD_LU ; 16-byte Folded Reload
	v_mul_f64_e32 v[6:7], s[2:3], v[0:1]
	ds_load_b128 v[0:3], v40 offset:50400
	global_store_b128 v[8:9], v[4:7], off
	s_wait_loadcnt_dscnt 0x0
	v_mul_f64_e32 v[4:5], v[12:13], v[2:3]
	s_delay_alu instid0(VALU_DEP_1) | instskip(SKIP_1) | instid1(VALU_DEP_2)
	v_fma_f64 v[4:5], v[10:11], v[0:1], v[4:5]
	v_mul_f64_e32 v[0:1], v[12:13], v[0:1]
	v_mul_f64_e32 v[4:5], s[2:3], v[4:5]
	s_delay_alu instid0(VALU_DEP_2) | instskip(NEXT) | instid1(VALU_DEP_1)
	v_fma_f64 v[0:1], v[10:11], v[2:3], -v[0:1]
	v_mul_f64_e32 v[6:7], s[2:3], v[0:1]
	v_add_co_u32 v0, vcc_lo, v8, s4
	s_wait_alu 0xfffd
	v_add_co_ci_u32_e32 v1, vcc_lo, s5, v9, vcc_lo
	global_store_b128 v[0:1], v[4:7], off
.LBB0_2:
	s_nop 0
	s_sendmsg sendmsg(MSG_DEALLOC_VGPRS)
	s_endpgm
	.section	.rodata,"a",@progbits
	.p2align	6, 0x0
	.amdhsa_kernel bluestein_single_back_len3375_dim1_dp_op_CI_CI
		.amdhsa_group_segment_fixed_size 54000
		.amdhsa_private_segment_fixed_size 548
		.amdhsa_kernarg_size 104
		.amdhsa_user_sgpr_count 2
		.amdhsa_user_sgpr_dispatch_ptr 0
		.amdhsa_user_sgpr_queue_ptr 0
		.amdhsa_user_sgpr_kernarg_segment_ptr 1
		.amdhsa_user_sgpr_dispatch_id 0
		.amdhsa_user_sgpr_private_segment_size 0
		.amdhsa_wavefront_size32 1
		.amdhsa_uses_dynamic_stack 0
		.amdhsa_enable_private_segment 1
		.amdhsa_system_sgpr_workgroup_id_x 1
		.amdhsa_system_sgpr_workgroup_id_y 0
		.amdhsa_system_sgpr_workgroup_id_z 0
		.amdhsa_system_sgpr_workgroup_info 0
		.amdhsa_system_vgpr_workitem_id 0
		.amdhsa_next_free_vgpr 256
		.amdhsa_next_free_sgpr 25
		.amdhsa_reserve_vcc 1
		.amdhsa_float_round_mode_32 0
		.amdhsa_float_round_mode_16_64 0
		.amdhsa_float_denorm_mode_32 3
		.amdhsa_float_denorm_mode_16_64 3
		.amdhsa_fp16_overflow 0
		.amdhsa_workgroup_processor_mode 1
		.amdhsa_memory_ordered 1
		.amdhsa_forward_progress 0
		.amdhsa_round_robin_scheduling 0
		.amdhsa_exception_fp_ieee_invalid_op 0
		.amdhsa_exception_fp_denorm_src 0
		.amdhsa_exception_fp_ieee_div_zero 0
		.amdhsa_exception_fp_ieee_overflow 0
		.amdhsa_exception_fp_ieee_underflow 0
		.amdhsa_exception_fp_ieee_inexact 0
		.amdhsa_exception_int_div_zero 0
	.end_amdhsa_kernel
	.text
.Lfunc_end0:
	.size	bluestein_single_back_len3375_dim1_dp_op_CI_CI, .Lfunc_end0-bluestein_single_back_len3375_dim1_dp_op_CI_CI
                                        ; -- End function
	.section	.AMDGPU.csdata,"",@progbits
; Kernel info:
; codeLenInByte = 25676
; NumSgprs: 27
; NumVgprs: 256
; ScratchSize: 548
; MemoryBound: 0
; FloatMode: 240
; IeeeMode: 1
; LDSByteSize: 54000 bytes/workgroup (compile time only)
; SGPRBlocks: 3
; VGPRBlocks: 31
; NumSGPRsForWavesPerEU: 27
; NumVGPRsForWavesPerEU: 256
; Occupancy: 4
; WaveLimiterHint : 1
; COMPUTE_PGM_RSRC2:SCRATCH_EN: 1
; COMPUTE_PGM_RSRC2:USER_SGPR: 2
; COMPUTE_PGM_RSRC2:TRAP_HANDLER: 0
; COMPUTE_PGM_RSRC2:TGID_X_EN: 1
; COMPUTE_PGM_RSRC2:TGID_Y_EN: 0
; COMPUTE_PGM_RSRC2:TGID_Z_EN: 0
; COMPUTE_PGM_RSRC2:TIDIG_COMP_CNT: 0
	.text
	.p2alignl 7, 3214868480
	.fill 96, 4, 3214868480
	.type	__hip_cuid_43b9059c628c4864,@object ; @__hip_cuid_43b9059c628c4864
	.section	.bss,"aw",@nobits
	.globl	__hip_cuid_43b9059c628c4864
__hip_cuid_43b9059c628c4864:
	.byte	0                               ; 0x0
	.size	__hip_cuid_43b9059c628c4864, 1

	.ident	"AMD clang version 19.0.0git (https://github.com/RadeonOpenCompute/llvm-project roc-6.4.0 25133 c7fe45cf4b819c5991fe208aaa96edf142730f1d)"
	.section	".note.GNU-stack","",@progbits
	.addrsig
	.addrsig_sym __hip_cuid_43b9059c628c4864
	.amdgpu_metadata
---
amdhsa.kernels:
  - .args:
      - .actual_access:  read_only
        .address_space:  global
        .offset:         0
        .size:           8
        .value_kind:     global_buffer
      - .actual_access:  read_only
        .address_space:  global
        .offset:         8
        .size:           8
        .value_kind:     global_buffer
      - .actual_access:  read_only
        .address_space:  global
        .offset:         16
        .size:           8
        .value_kind:     global_buffer
      - .actual_access:  read_only
        .address_space:  global
        .offset:         24
        .size:           8
        .value_kind:     global_buffer
      - .actual_access:  read_only
        .address_space:  global
        .offset:         32
        .size:           8
        .value_kind:     global_buffer
      - .offset:         40
        .size:           8
        .value_kind:     by_value
      - .address_space:  global
        .offset:         48
        .size:           8
        .value_kind:     global_buffer
      - .address_space:  global
        .offset:         56
        .size:           8
        .value_kind:     global_buffer
      - .address_space:  global
        .offset:         64
        .size:           8
        .value_kind:     global_buffer
      - .address_space:  global
        .offset:         72
        .size:           8
        .value_kind:     global_buffer
      - .offset:         80
        .size:           4
        .value_kind:     by_value
      - .address_space:  global
        .offset:         88
        .size:           8
        .value_kind:     global_buffer
      - .address_space:  global
        .offset:         96
        .size:           8
        .value_kind:     global_buffer
    .group_segment_fixed_size: 54000
    .kernarg_segment_align: 8
    .kernarg_segment_size: 104
    .language:       OpenCL C
    .language_version:
      - 2
      - 0
    .max_flat_workgroup_size: 225
    .name:           bluestein_single_back_len3375_dim1_dp_op_CI_CI
    .private_segment_fixed_size: 548
    .sgpr_count:     27
    .sgpr_spill_count: 0
    .symbol:         bluestein_single_back_len3375_dim1_dp_op_CI_CI.kd
    .uniform_work_group_size: 1
    .uses_dynamic_stack: false
    .vgpr_count:     256
    .vgpr_spill_count: 136
    .wavefront_size: 32
    .workgroup_processor_mode: 1
amdhsa.target:   amdgcn-amd-amdhsa--gfx1201
amdhsa.version:
  - 1
  - 2
...

	.end_amdgpu_metadata
